;; amdgpu-corpus repo=ROCm/aiter kind=harvested arch=n/a opt=n/a

/root/src/amdgpu-assembly/repos/ROCm__aiter/hsa/gfx950/mla/mla_a16w16_qh16_m16x4_n16x1_coex0_mask1_lse_ps.co:	file format elf64-amdgpu

Disassembly of section .text:

0000000000002500 <_ZN5aiter46mla_a16w16_qh16_m16x4_n16x1_coex0_mask1_lse_psE>:
	s_and_b32 s1, s1, 0xffff                                   // 000000002500: 8601FF01 0000FFFF
	s_load_dwordx2 s[28:29], s[0:1], 0xe0                      // 000000002508: C0060700 000000E0
	v_lshrrev_b32_e32 v1, 10, v0                               // 000000002510: 2002008A
	v_lshrrev_b32_e32 v2, 10, v1                               // 000000002514: 2004028A
	v_and_b32_e32 v2, 0x3ff, v2                                // 000000002518: 260404FF 000003FF
	v_and_b32_e32 v1, 0x3ff, v1                                // 000000002520: 260202FF 000003FF
	v_and_b32_e32 v0, 0x3ff, v0                                // 000000002528: 260000FF 000003FF
	v_lshrrev_b32_e32 v3, 6, v0                                // 000000002530: 20060086
	v_and_b32_e32 v0, 63, v0                                   // 000000002534: 260000BF
	s_mov_b32 s2, s2                                           // 000000002538: BE820002
	s_mov_b32 s3, s3                                           // 00000000253C: BE830003
	s_mov_b32 s4, s4                                           // 000000002540: BE840004
	v_readfirstlane_b32 s7, v3                                 // 000000002544: 7E0E0503
	s_waitcnt lgkmcnt(0)                                       // 000000002548: BF8CC07F
	s_and_b32 s29, s29, 0xffff                                 // 00000000254C: 861DFF1D 0000FFFF
	s_load_dwordx2 s[32:33], s[28:29], 0x0                     // 000000002554: C006080E 00000000
	s_load_dwordx2 s[30:31], s[28:29], 0x8                     // 00000000255C: C006078E 00000008
	s_waitcnt lgkmcnt(0)                                       // 000000002564: BF8CC07F
	s_mul_i32 s56, s2, 4                                       // 000000002568: 92388402
	s_and_b32 s33, s33, 0xffff                                 // 00000000256C: 8621FF21 0000FFFF
	s_add_u32 s32, s56, s32                                    // 000000002574: 80202038
	s_addc_u32 s33, 0, s33                                     // 000000002578: 82212180
	s_load_dword s85, s[32:33], 0x0                            // 00000000257C: C0021550 00000000
	s_load_dword s86, s[32:33], 0x4                            // 000000002584: C0021590 00000004
	s_and_b32 s31, s31, 0xffff                                 // 00000000258C: 861FFF1F 0000FFFF
	s_waitcnt lgkmcnt(0)                                       // 000000002594: BF8CC07F
	s_cmp_eq_i32 s85, s86                                      // 000000002598: BF005655
	s_cbranch_scc1 label_65F0                                  // 00000000259C: BF851954
	s_mul_i32 s56, s85, 32                                     // 0000000025A0: 9238A055

00000000000025a4 <label_00A4>:
	s_waitcnt vmcnt(0) expcnt(0) lgkmcnt(0)                    // 0000000025A4: BF8C0000
	s_barrier                                                  // 0000000025A8: BF8A0000
	s_add_u32 s30, s56, s30                                    // 0000000025AC: 801E1E38
	s_addc_u32 s31, 0, s31                                     // 0000000025B0: 821F1F80
	s_load_dword s87, s[30:31], 0x4                            // 0000000025B4: C00215CF 00000004
	s_load_dword s78, s[30:31], 0x8                            // 0000000025BC: C002138F 00000008
	s_load_dword s79, s[30:31], 0xc                            // 0000000025C4: C00213CF 0000000C
	s_load_dword s46, s[30:31], 0x10                           // 0000000025CC: C0020B8F 00000010
	s_load_dword s47, s[30:31], 0x14                           // 0000000025D4: C0020BCF 00000014
	s_load_dword s62, s[30:31], 0x18                           // 0000000025DC: C0020F8F 00000018
	s_load_dwordx2 s[8:9], s[0:1], 0x0                         // 0000000025E4: C0060200 00000000
	s_load_dwordx2 s[12:13], s[0:1], 0x10                      // 0000000025EC: C0060300 00000010
	s_load_dwordx2 s[16:17], s[0:1], 0x20                      // 0000000025F4: C0060400 00000020
	s_load_dwordx2 s[20:21], s[0:1], 0x30                      // 0000000025FC: C0060500 00000030
	s_load_dwordx2 s[24:25], s[0:1], 0x50                      // 000000002604: C0060600 00000050
	s_load_dword s64, s[0:1], 0x70                             // 00000000260C: C0021000 00000070
	s_load_dword s65, s[0:1], 0x80                             // 000000002614: C0021040 00000080
	s_load_dword s66, s[0:1], 0xa0                             // 00000000261C: C0021080 000000A0
	s_load_dword s68, s[0:1], 0xb0                             // 000000002624: C0021100 000000B0
	s_load_dword s69, s[0:1], 0xc0                             // 00000000262C: C0021140 000000C0
	s_load_dwordx2 s[88:89], s[0:1], 0xf0                      // 000000002634: C0061600 000000F0
	s_load_dwordx2 s[92:93], s[0:1], 0x130                     // 00000000263C: C0061700 00000130
	s_waitcnt lgkmcnt(0)                                       // 000000002644: BF8CC07F
	s_mov_b32 s65, 16                                          // 000000002648: BEC10090
	s_mul_i32 s75, 0x800, s65                                  // 00000000264C: 924B41FF 00000800
	s_mul_i32 s74, 0x480, s65                                  // 000000002654: 924A41FF 00000480
	s_mul_i32 s56, 4, s65                                      // 00000000265C: 92384184
	s_mov_b32 s10, s75                                         // 000000002660: BE8A004B
	s_mov_b32 s18, -16                                         // 000000002664: BE9200D0
	s_mov_b32 s14, -16                                         // 000000002668: BE8E00D0
	s_mov_b32 s22, -16                                         // 00000000266C: BE9600D0
	s_mov_b32 s26, -16                                         // 000000002670: BE9A00D0
	s_mov_b32 s94, -16                                         // 000000002674: BEDE00D0
	s_mov_b32 s11, 0x20000                                     // 000000002678: BE8B00FF 00020000
	s_mov_b32 s91, 0x20000                                     // 000000002680: BEDB00FF 00020000
	s_mov_b32 s19, 0x20000                                     // 000000002688: BE9300FF 00020000
	s_mov_b32 s15, 0x20000                                     // 000000002690: BE8F00FF 00020000
	s_mov_b32 s23, 0x20000                                     // 000000002698: BE9700FF 00020000
	s_mov_b32 s27, 0x20000                                     // 0000000026A0: BE9B00FF 00020000
	s_mov_b32 s95, 0x20000                                     // 0000000026A8: BEDF00FF 00020000
	s_and_b32 s9, s9, 0xffff                                   // 0000000026B0: 8609FF09 0000FFFF
	s_and_b32 s89, s89, 0xffff                                 // 0000000026B8: 8659FF59 0000FFFF
	s_and_b32 s17, s17, 0xffff                                 // 0000000026C0: 8611FF11 0000FFFF
	s_and_b32 s13, s13, 0xffff                                 // 0000000026C8: 860DFF0D 0000FFFF
	s_and_b32 s21, s21, 0xffff                                 // 0000000026D0: 8615FF15 0000FFFF
	s_and_b32 s25, s25, 0xffff                                 // 0000000026D8: 8619FF19 0000FFFF
	s_and_b32 s93, s93, 0xffff                                 // 0000000026E0: 865DFF5D 0000FFFF
	s_or_b32 s9, s9, 0x40000                                   // 0000000026E8: 8709FF09 00040000
	s_or_b32 s89, s89, 0x40000                                 // 0000000026F0: 8759FF59 00040000
	s_or_b32 s17, s17, 0x40000                                 // 0000000026F8: 8711FF11 00040000
	s_or_b32 s13, s13, 0x40000                                 // 000000002700: 870DFF0D 00040000
	s_or_b32 s21, s21, 0x40000                                 // 000000002708: 8715FF15 00040000
	s_or_b32 s25, s25, 0x40000                                 // 000000002710: 8719FF19 00040000
	s_or_b32 s93, s93, 0x40000                                 // 000000002718: 875DFF5D 00040000
	s_waitcnt lgkmcnt(0)                                       // 000000002720: BF8CC07F
	s_mov_b32 s67, 1                                           // 000000002724: BEC30081
	s_mov_b32 s80, 0                                           // 000000002728: BED00080
	s_sub_u32 s81, s79, s78                                    // 00000000272C: 80D14E4F
	s_mul_i32 s57, 4, s65                                      // 000000002730: 92394184
	s_mul_i32 s56, s57, s81                                    // 000000002734: 92385139
	s_mov_b32 s94, s56                                         // 000000002738: BEDE0038
	s_mov_b32 s69, 0                                           // 00000000273C: BEC50080
	s_lshr_b32 s44, 16, s69                                    // 000000002740: 8F2C4590
	s_mul_i32 s73, s44, 4                                      // 000000002744: 9249842C
	s_mul_i32 s73, s73, s67                                    // 000000002748: 92494349
	s_mul_i32 s45, s4, s44                                     // 00000000274C: 922D2C04
	s_sub_u32 s50, s47, s46                                    // 000000002750: 80B22E2F
	s_lshl_b32 s56, s50, s69                                   // 000000002754: 8E384532
	s_sub_u32 s82, s56, s81                                    // 000000002758: 80D25138
	s_mov_b32 s58, s62                                         // 00000000275C: BEBA003E
	s_add_u32 s82, s82, s58                                    // 000000002760: 80523A52
	s_add_u32 s57, s82, 8                                      // 000000002764: 80398852
	s_min_u32 s56, s56, s57                                    // 000000002768: 83B83938
	s_lshr_b32 s50, s56, s69                                   // 00000000276C: 8F324538
	s_lshl_b32 s56, s45, s69                                   // 000000002770: 8E38452D
	s_add_u32 s83, s56, 15                                     // 000000002774: 80538F38
	s_mul_i32 s84, s67, 16                                     // 000000002778: 92549043
	s_cmp_le_u32 s50, s45                                      // 00000000277C: BF0B2D32
	s_cbranch_scc1 label_65F0                                  // 000000002780: BF8518DB
	s_mul_i32 s56, s50, 4                                      // 000000002784: 92388432
	s_mov_b32 s26, s56                                         // 000000002788: BE9A0038
	s_mul_i32 s56, s46, 4                                      // 00000000278C: 9238842E
	s_add_u32 s24, s56, s24                                    // 000000002790: 80181838
	s_addc_u32 s25, 0, s25                                     // 000000002794: 82191980
	s_mov_b32 s70, 0                                           // 000000002798: BEC60080
	s_sub_u32 s71, s50, s45                                    // 00000000279C: 80C72D32
	s_mul_i32 s39, s67, s44                                    // 0000000027A0: 92272C43
	s_mov_b32 s38, s71                                         // 0000000027A4: BEA60047
	v_cvt_f32_u32_e32 v20, s39                                 // 0000000027A8: 7E280C27
	s_sub_i32 s56, 0, s39                                      // 0000000027AC: 81B82780
	v_rcp_iflag_f32_e32 v20, v20                               // 0000000027B0: 7E284714
	s_nop 0                                                    // 0000000027B4: BF800000
	v_mul_f32_e32 v20, 0x4f7ffffe, v20                         // 0000000027B8: 0A2828FF 4F7FFFFE
	v_cvt_u32_f32_e32 v20, v20                                 // 0000000027C0: 7E280F14
	v_mul_lo_u32 v21, s56, v20                                 // 0000000027C4: D2850015 00022838
	v_mul_hi_u32 v21, v20, v21                                 // 0000000027CC: D2860015 00022B14
	v_add_u32_e32 v20, v20, v21                                // 0000000027D4: 68282B14
	v_mul_hi_u32 v20, s38, v20                                 // 0000000027D8: D2860014 00022826
	v_mul_lo_u32 v21, v20, s39                                 // 0000000027E0: D2850015 00004F14
	v_sub_u32_e32 v23, s38, v21                                // 0000000027E8: 6A2E2A26
	v_add_u32_e32 v22, 1, v20                                  // 0000000027EC: 682C2881
	v_cmp_le_u32_e32 vcc, s39, v23                             // 0000000027F0: 7D962E27
	v_subrev_u32_e32 v21, s39, v23                             // 0000000027F4: 6C2A2E27
	s_nop 0                                                    // 0000000027F8: BF800000
	v_cndmask_b32_e32 v20, v20, v22, vcc                       // 0000000027FC: 00282D14
	v_cndmask_b32_e32 v23, v23, v21, vcc                       // 000000002800: 002E2B17
	v_add_u32_e32 v21, 1, v20                                  // 000000002804: 682A2881
	v_cmp_le_u32_e32 vcc, s39, v23                             // 000000002808: 7D962E27
	s_nop 1                                                    // 00000000280C: BF800001
	v_cndmask_b32_e32 v23, v20, v21, vcc                       // 000000002810: 002E2B14
	s_nop 3                                                    // 000000002814: BF800003
	v_readfirstlane_b32 s40, v23                               // 000000002818: 7E500517
	s_nop 3                                                    // 00000000281C: BF800003
	s_mov_b32 s71, s40                                         // 000000002820: BEC70028
	s_mul_i32 s56, s71, s39                                    // 000000002824: 92382747
	s_sub_u32 s56, s38, s56                                    // 000000002828: 80B83826
	s_mov_b32 s57, 0                                           // 00000000282C: BEB90080
	s_cmp_lt_u32 s56, s44                                      // 000000002830: BF0A2C38
	s_cselect_b32 s57, s57, 1                                  // 000000002834: 85398139
	s_add_u32 s71, s57, s71                                    // 000000002838: 80474739
	s_cmpk_eq_u32 s57, 0x1                                     // 00000000283C: B4390001
	s_cselect_b32 s49, 0, s56                                  // 000000002840: 85313880
	s_mov_b32 s48, s49                                         // 000000002844: BEB00031
	v_lshrrev_b32_e32 v20, 3, v0                               // 000000002848: 20280083
	v_and_b32_e32 v21, 1, v20                                  // 00000000284C: 262A2881
	v_lshlrev_b32_e32 v8, 3, v21                               // 000000002850: 24102A83
	v_and_b32_e32 v20, 4, v20                                  // 000000002854: 26282884
	v_add_u32_e32 v8, v8, v20                                  // 000000002858: 68102908
	v_add_u32_e64 v8, v8, s7                                   // 00000000285C: D1340008 00000F08
	v_add_u32_e32 v8, s45, v8                                  // 000000002864: 6810102D
	v_lshlrev_b32_e32 v8, 2, v8                                // 000000002868: 24101082
	buffer_load_dword v10, v8, s[24:27], 0 offen               // 00000000286C: E0501000 80060A08
	v_add_u32_e32 v8, s73, v8                                  // 000000002874: 68101049
	buffer_load_dword v11, v8, s[24:27], 0 offen               // 000000002878: E0501000 80060B08
	v_add_u32_e32 v8, s73, v8                                  // 000000002880: 68101049
	s_add_u32 s56, s80, s78                                    // 000000002884: 80384E50
	v_mov_b32_e32 v20, s56                                     // 000000002888: 7E280238
	v_mul_lo_u32 v21, s74, v20                                 // 00000000288C: D2850015 0002284A
	v_mul_hi_u32 v22, s74, v20                                 // 000000002894: D2860016 0002284A
	s_nop 2                                                    // 00000000289C: BF800002
	v_readfirstlane_b32 s56, v21                               // 0000000028A0: 7E700515
	v_readfirstlane_b32 s57, v22                               // 0000000028A4: 7E720516
	s_nop 4                                                    // 0000000028A8: BF800004
	s_add_u32 s16, s56, s16                                    // 0000000028AC: 80101038
	s_addc_u32 s17, s57, s17                                   // 0000000028B0: 82111139
	s_sub_u32 s56, s81, s80                                    // 0000000028B4: 80B85051
	s_mul_i32 s56, s56, s74                                    // 0000000028B8: 92384A38
	s_mov_b32 s18, s56                                         // 0000000028BC: BE920038
	s_mul_i32 s56, s7, 0x480                                   // 0000000028C0: 9238FF07 00000480
	v_lshlrev_b32_e32 v30, 2, v0                               // 0000000028C8: 243C0082
	v_add_u32_e32 v30, s56, v30                                // 0000000028CC: 683C3C38
	s_mul_i32 s56, s7, 0x1420                                  // 0000000028D0: 9238FF07 00001420
	s_add_u32 s34, 0, s56                                      // 0000000028D8: 80223880
	s_add_u32 s35, 0x5080, s34                                 // 0000000028DC: 802322FF 00005080
	s_add_u32 s36, 0x5080, s35                                 // 0000000028E4: 802423FF 00005080
	v_lshrrev_b32_e32 v20, 4, v0                               // 0000000028EC: 20280084
	v_lshlrev_b32_e32 v21, 2, v20                              // 0000000028F0: 242A2882
	v_and_b32_e32 v20, 15, v0                                  // 0000000028F4: 2628008F
	v_lshrrev_b32_e32 v22, 2, v20                              // 0000000028F8: 202C2882
	v_mul_i32_i24_e32 v22, 0x140, v22                          // 0000000028FC: 0C2C2CFF 00000140
	v_add_u32_e32 v21, v22, v21                                // 000000002904: 682A2B16
	v_and_b32_e32 v20, 3, v0                                   // 000000002908: 26280083
	v_mul_i32_i24_e32 v22, 0x508, v20                          // 00000000290C: 0C2C28FF 00000508
	v_add_u32_e32 v21, v22, v21                                // 000000002914: 682A2B16
	v_lshlrev_b32_e32 v29, 2, v21                              // 000000002918: 243A2A82
	s_mov_b32 m0, s34                                          // 00000000291C: BEFC0022
	v_add_u32_e32 v28, 0, v30                                  // 000000002920: 68383C80
	buffer_load_dword v28, s[16:19], 0 offen lds               // 000000002924: E0511000 8004001C
	buffer_load_dword v28, s[16:19], 0 offen offset:256 lds    // 00000000292C: E0511100 8004001C
	buffer_load_dword v28, s[16:19], 0 offen offset:512 lds    // 000000002934: E0511200 8004001C
	buffer_load_dword v28, s[16:19], 0 offen offset:768 lds    // 00000000293C: E0511300 8004001C
	buffer_load_dword v28, s[16:19], 0 offen offset:1024 lds   // 000000002944: E0511400 8004001C
	s_add_u32 m0, m0, 0x500                                    // 00000000294C: 807CFF7C 00000500
	v_add_u32_e32 v28, 0x1200, v28                             // 000000002954: 683838FF 00001200
	buffer_load_dword v28, s[16:19], 0 offen lds               // 00000000295C: E0511000 8004001C
	buffer_load_dword v28, s[16:19], 0 offen offset:256 lds    // 000000002964: E0511100 8004001C
	buffer_load_dword v28, s[16:19], 0 offen offset:512 lds    // 00000000296C: E0511200 8004001C
	buffer_load_dword v28, s[16:19], 0 offen offset:768 lds    // 000000002974: E0511300 8004001C
	buffer_load_dword v28, s[16:19], 0 offen offset:1024 lds   // 00000000297C: E0511400 8004001C
	s_add_u32 m0, m0, 0x500                                    // 000000002984: 807CFF7C 00000500
	v_add_u32_e32 v28, 0x1200, v28                             // 00000000298C: 683838FF 00001200
	buffer_load_dword v28, s[16:19], 0 offen lds               // 000000002994: E0511000 8004001C
	buffer_load_dword v28, s[16:19], 0 offen offset:256 lds    // 00000000299C: E0511100 8004001C
	buffer_load_dword v28, s[16:19], 0 offen offset:512 lds    // 0000000029A4: E0511200 8004001C
	buffer_load_dword v28, s[16:19], 0 offen offset:768 lds    // 0000000029AC: E0511300 8004001C
	buffer_load_dword v28, s[16:19], 0 offen offset:1024 lds   // 0000000029B4: E0511400 8004001C
	s_add_u32 m0, m0, 0x500                                    // 0000000029BC: 807CFF7C 00000500
	v_add_u32_e32 v28, 0x1200, v28                             // 0000000029C4: 683838FF 00001200
	buffer_load_dword v28, s[16:19], 0 offen lds               // 0000000029CC: E0511000 8004001C
	buffer_load_dword v28, s[16:19], 0 offen offset:256 lds    // 0000000029D4: E0511100 8004001C
	buffer_load_dword v28, s[16:19], 0 offen offset:512 lds    // 0000000029DC: E0511200 8004001C
	buffer_load_dword v28, s[16:19], 0 offen offset:768 lds    // 0000000029E4: E0511300 8004001C
	buffer_load_dword v28, s[16:19], 0 offen offset:1024 lds   // 0000000029EC: E0511400 8004001C
	s_add_u32 m0, m0, 0x500                                    // 0000000029F4: 807CFF7C 00000500
	v_add_u32_e32 v28, 0x1200, v28                             // 0000000029FC: 683838FF 00001200
	s_mov_b32 m0, s35                                          // 000000002A04: BEFC0023
	v_add_u32_e32 v28, 0x4800, v30                             // 000000002A08: 68383CFF 00004800
	buffer_load_dword v28, s[16:19], 0 offen lds               // 000000002A10: E0511000 8004001C
	buffer_load_dword v28, s[16:19], 0 offen offset:256 lds    // 000000002A18: E0511100 8004001C
	buffer_load_dword v28, s[16:19], 0 offen offset:512 lds    // 000000002A20: E0511200 8004001C
	buffer_load_dword v28, s[16:19], 0 offen offset:768 lds    // 000000002A28: E0511300 8004001C
	buffer_load_dword v28, s[16:19], 0 offen offset:1024 lds   // 000000002A30: E0511400 8004001C
	s_add_u32 m0, m0, 0x500                                    // 000000002A38: 807CFF7C 00000500
	v_add_u32_e32 v28, 0x1200, v28                             // 000000002A40: 683838FF 00001200
	buffer_load_dword v28, s[16:19], 0 offen lds               // 000000002A48: E0511000 8004001C
	buffer_load_dword v28, s[16:19], 0 offen offset:256 lds    // 000000002A50: E0511100 8004001C
	buffer_load_dword v28, s[16:19], 0 offen offset:512 lds    // 000000002A58: E0511200 8004001C
	buffer_load_dword v28, s[16:19], 0 offen offset:768 lds    // 000000002A60: E0511300 8004001C
	buffer_load_dword v28, s[16:19], 0 offen offset:1024 lds   // 000000002A68: E0511400 8004001C
	s_add_u32 m0, m0, 0x500                                    // 000000002A70: 807CFF7C 00000500
	v_add_u32_e32 v28, 0x1200, v28                             // 000000002A78: 683838FF 00001200
	buffer_load_dword v28, s[16:19], 0 offen lds               // 000000002A80: E0511000 8004001C
	buffer_load_dword v28, s[16:19], 0 offen offset:256 lds    // 000000002A88: E0511100 8004001C
	buffer_load_dword v28, s[16:19], 0 offen offset:512 lds    // 000000002A90: E0511200 8004001C
	buffer_load_dword v28, s[16:19], 0 offen offset:768 lds    // 000000002A98: E0511300 8004001C
	buffer_load_dword v28, s[16:19], 0 offen offset:1024 lds   // 000000002AA0: E0511400 8004001C
	s_add_u32 m0, m0, 0x500                                    // 000000002AA8: 807CFF7C 00000500
	v_add_u32_e32 v28, 0x1200, v28                             // 000000002AB0: 683838FF 00001200
	buffer_load_dword v28, s[16:19], 0 offen lds               // 000000002AB8: E0511000 8004001C
	buffer_load_dword v28, s[16:19], 0 offen offset:256 lds    // 000000002AC0: E0511100 8004001C
	buffer_load_dword v28, s[16:19], 0 offen offset:512 lds    // 000000002AC8: E0511200 8004001C
	buffer_load_dword v28, s[16:19], 0 offen offset:768 lds    // 000000002AD0: E0511300 8004001C
	buffer_load_dword v28, s[16:19], 0 offen offset:1024 lds   // 000000002AD8: E0511400 8004001C
	s_add_u32 m0, m0, 0x500                                    // 000000002AE0: 807CFF7C 00000500
	v_add_u32_e32 v28, 0x1200, v28                             // 000000002AE8: 683838FF 00001200
	s_waitcnt vmcnt(20)                                        // 000000002AF0: BF8C4F74
	s_barrier                                                  // 000000002AF4: BF8A0000
	s_mov_b32 m0, s36                                          // 000000002AF8: BEFC0024
	v_add_u32_e32 v28, 0x9000, v30                             // 000000002AFC: 68383CFF 00009000
	buffer_load_dword v28, s[16:19], 0 offen lds               // 000000002B04: E0511000 8004001C
	buffer_load_dword v28, s[16:19], 0 offen offset:256 lds    // 000000002B0C: E0511100 8004001C
	buffer_load_dword v28, s[16:19], 0 offen offset:512 lds    // 000000002B14: E0511200 8004001C
	buffer_load_dword v28, s[16:19], 0 offen offset:768 lds    // 000000002B1C: E0511300 8004001C
	buffer_load_dword v28, s[16:19], 0 offen offset:1024 lds   // 000000002B24: E0511400 8004001C
	s_add_u32 m0, m0, 0x500                                    // 000000002B2C: 807CFF7C 00000500
	v_add_u32_e32 v28, 0x1200, v28                             // 000000002B34: 683838FF 00001200
	buffer_load_dword v28, s[16:19], 0 offen lds               // 000000002B3C: E0511000 8004001C
	buffer_load_dword v28, s[16:19], 0 offen offset:256 lds    // 000000002B44: E0511100 8004001C
	buffer_load_dword v28, s[16:19], 0 offen offset:512 lds    // 000000002B4C: E0511200 8004001C
	buffer_load_dword v28, s[16:19], 0 offen offset:768 lds    // 000000002B54: E0511300 8004001C
	buffer_load_dword v28, s[16:19], 0 offen offset:1024 lds   // 000000002B5C: E0511400 8004001C
	s_add_u32 m0, m0, 0x500                                    // 000000002B64: 807CFF7C 00000500
	v_add_u32_e32 v28, 0x1200, v28                             // 000000002B6C: 683838FF 00001200
	buffer_load_dword v28, s[16:19], 0 offen lds               // 000000002B74: E0511000 8004001C
	buffer_load_dword v28, s[16:19], 0 offen offset:256 lds    // 000000002B7C: E0511100 8004001C
	buffer_load_dword v28, s[16:19], 0 offen offset:512 lds    // 000000002B84: E0511200 8004001C
	buffer_load_dword v28, s[16:19], 0 offen offset:768 lds    // 000000002B8C: E0511300 8004001C
	buffer_load_dword v28, s[16:19], 0 offen offset:1024 lds   // 000000002B94: E0511400 8004001C
	s_add_u32 m0, m0, 0x500                                    // 000000002B9C: 807CFF7C 00000500
	v_add_u32_e32 v28, 0x1200, v28                             // 000000002BA4: 683838FF 00001200
	buffer_load_dword v28, s[16:19], 0 offen lds               // 000000002BAC: E0511000 8004001C
	buffer_load_dword v28, s[16:19], 0 offen offset:256 lds    // 000000002BB4: E0511100 8004001C
	buffer_load_dword v28, s[16:19], 0 offen offset:512 lds    // 000000002BBC: E0511200 8004001C
	buffer_load_dword v28, s[16:19], 0 offen offset:768 lds    // 000000002BC4: E0511300 8004001C
	buffer_load_dword v28, s[16:19], 0 offen offset:1024 lds   // 000000002BCC: E0511400 8004001C
	s_add_u32 m0, m0, 0x500                                    // 000000002BD4: 807CFF7C 00000500
	v_add_u32_e32 v28, 0x1200, v28                             // 000000002BDC: 683838FF 00001200
	s_cmp_eq_i32 s7, 0                                         // 000000002BE4: BF008007
	s_cbranch_scc0 label_0780                                  // 000000002BE8: BF840025
	ds_read_b128 a[0:3], v29                                   // 000000002BEC: DBFE0000 0000001D
	ds_read_b128 a[4:7], v29 offset:64                         // 000000002BF4: DBFE0040 0400001D
	ds_read_b128 a[8:11], v29 offset:128                       // 000000002BFC: DBFE0080 0800001D
	ds_read_b128 a[12:15], v29 offset:192                      // 000000002C04: DBFE00C0 0C00001D
	ds_read_b128 a[16:19], v29 offset:256                      // 000000002C0C: DBFE0100 1000001D
	ds_read_b128 a[20:23], v29 offset:320                      // 000000002C14: DBFE0140 1400001D
	ds_read_b128 a[24:27], v29 offset:384                      // 000000002C1C: DBFE0180 1800001D
	ds_read_b128 a[28:31], v29 offset:448                      // 000000002C24: DBFE01C0 1C00001D
	ds_read_b128 a[32:35], v29 offset:512                      // 000000002C2C: DBFE0200 2000001D
	ds_read_b128 a[36:39], v29 offset:576                      // 000000002C34: DBFE0240 2400001D
	ds_read_b128 a[40:43], v29 offset:640                      // 000000002C3C: DBFE0280 2800001D
	ds_read_b128 a[44:47], v29 offset:704                      // 000000002C44: DBFE02C0 2C00001D
	ds_read_b128 a[48:51], v29 offset:768                      // 000000002C4C: DBFE0300 3000001D
	ds_read_b128 a[52:55], v29 offset:832                      // 000000002C54: DBFE0340 3400001D
	ds_read_b128 a[56:59], v29 offset:896                      // 000000002C5C: DBFE0380 3800001D
	ds_read_b128 a[60:63], v29 offset:960                      // 000000002C64: DBFE03C0 3C00001D
	ds_read_b128 a[64:67], v29 offset:1024                     // 000000002C6C: DBFE0400 4000001D
	ds_read_b128 a[68:71], v29 offset:1088                     // 000000002C74: DBFE0440 4400001D
	s_waitcnt lgkmcnt(0)                                       // 000000002C7C: BF8CC07F

0000000000002c80 <label_0780>:
	s_waitcnt vmcnt(20)                                        // 000000002C80: BF8C4F74
	s_barrier                                                  // 000000002C84: BF8A0000
	s_mov_b32 m0, s34                                          // 000000002C88: BEFC0022
	v_add_u32_e32 v28, 0xd800, v30                             // 000000002C8C: 68383CFF 0000D800
	buffer_load_dword v28, s[16:19], 0 offen lds               // 000000002C94: E0511000 8004001C
	buffer_load_dword v28, s[16:19], 0 offen offset:256 lds    // 000000002C9C: E0511100 8004001C
	buffer_load_dword v28, s[16:19], 0 offen offset:512 lds    // 000000002CA4: E0511200 8004001C
	buffer_load_dword v28, s[16:19], 0 offen offset:768 lds    // 000000002CAC: E0511300 8004001C
	buffer_load_dword v28, s[16:19], 0 offen offset:1024 lds   // 000000002CB4: E0511400 8004001C
	s_add_u32 m0, m0, 0x500                                    // 000000002CBC: 807CFF7C 00000500
	v_add_u32_e32 v28, 0x1200, v28                             // 000000002CC4: 683838FF 00001200
	buffer_load_dword v28, s[16:19], 0 offen lds               // 000000002CCC: E0511000 8004001C
	buffer_load_dword v28, s[16:19], 0 offen offset:256 lds    // 000000002CD4: E0511100 8004001C
	buffer_load_dword v28, s[16:19], 0 offen offset:512 lds    // 000000002CDC: E0511200 8004001C
	buffer_load_dword v28, s[16:19], 0 offen offset:768 lds    // 000000002CE4: E0511300 8004001C
	buffer_load_dword v28, s[16:19], 0 offen offset:1024 lds   // 000000002CEC: E0511400 8004001C
	s_add_u32 m0, m0, 0x500                                    // 000000002CF4: 807CFF7C 00000500
	v_add_u32_e32 v28, 0x1200, v28                             // 000000002CFC: 683838FF 00001200
	buffer_load_dword v28, s[16:19], 0 offen lds               // 000000002D04: E0511000 8004001C
	buffer_load_dword v28, s[16:19], 0 offen offset:256 lds    // 000000002D0C: E0511100 8004001C
	buffer_load_dword v28, s[16:19], 0 offen offset:512 lds    // 000000002D14: E0511200 8004001C
	buffer_load_dword v28, s[16:19], 0 offen offset:768 lds    // 000000002D1C: E0511300 8004001C
	buffer_load_dword v28, s[16:19], 0 offen offset:1024 lds   // 000000002D24: E0511400 8004001C
	s_add_u32 m0, m0, 0x500                                    // 000000002D2C: 807CFF7C 00000500
	v_add_u32_e32 v28, 0x1200, v28                             // 000000002D34: 683838FF 00001200
	buffer_load_dword v28, s[16:19], 0 offen lds               // 000000002D3C: E0511000 8004001C
	buffer_load_dword v28, s[16:19], 0 offen offset:256 lds    // 000000002D44: E0511100 8004001C
	buffer_load_dword v28, s[16:19], 0 offen offset:512 lds    // 000000002D4C: E0511200 8004001C
	buffer_load_dword v28, s[16:19], 0 offen offset:768 lds    // 000000002D54: E0511300 8004001C
	buffer_load_dword v28, s[16:19], 0 offen offset:1024 lds   // 000000002D5C: E0511400 8004001C
	s_add_u32 m0, m0, 0x500                                    // 000000002D64: 807CFF7C 00000500
	v_add_u32_e32 v28, 0x1200, v28                             // 000000002D6C: 683838FF 00001200
	s_cmp_eq_i32 s7, 1                                         // 000000002D74: BF008107
	s_cbranch_scc0 label_0910                                  // 000000002D78: BF840025
	ds_read_b128 a[0:3], v29 offset:20608                      // 000000002D7C: DBFE5080 0000001D
	ds_read_b128 a[4:7], v29 offset:20672                      // 000000002D84: DBFE50C0 0400001D
	ds_read_b128 a[8:11], v29 offset:20736                     // 000000002D8C: DBFE5100 0800001D
	ds_read_b128 a[12:15], v29 offset:20800                    // 000000002D94: DBFE5140 0C00001D
	ds_read_b128 a[16:19], v29 offset:20864                    // 000000002D9C: DBFE5180 1000001D
	ds_read_b128 a[20:23], v29 offset:20928                    // 000000002DA4: DBFE51C0 1400001D
	ds_read_b128 a[24:27], v29 offset:20992                    // 000000002DAC: DBFE5200 1800001D
	ds_read_b128 a[28:31], v29 offset:21056                    // 000000002DB4: DBFE5240 1C00001D
	ds_read_b128 a[32:35], v29 offset:21120                    // 000000002DBC: DBFE5280 2000001D
	ds_read_b128 a[36:39], v29 offset:21184                    // 000000002DC4: DBFE52C0 2400001D
	ds_read_b128 a[40:43], v29 offset:21248                    // 000000002DCC: DBFE5300 2800001D
	ds_read_b128 a[44:47], v29 offset:21312                    // 000000002DD4: DBFE5340 2C00001D
	ds_read_b128 a[48:51], v29 offset:21376                    // 000000002DDC: DBFE5380 3000001D
	ds_read_b128 a[52:55], v29 offset:21440                    // 000000002DE4: DBFE53C0 3400001D
	ds_read_b128 a[56:59], v29 offset:21504                    // 000000002DEC: DBFE5400 3800001D
	ds_read_b128 a[60:63], v29 offset:21568                    // 000000002DF4: DBFE5440 3C00001D
	ds_read_b128 a[64:67], v29 offset:21632                    // 000000002DFC: DBFE5480 4000001D
	ds_read_b128 a[68:71], v29 offset:21696                    // 000000002E04: DBFE54C0 4400001D
	s_waitcnt lgkmcnt(0)                                       // 000000002E0C: BF8CC07F

0000000000002e10 <label_0910>:
	s_waitcnt vmcnt(20)                                        // 000000002E10: BF8C4F74
	s_barrier                                                  // 000000002E14: BF8A0000
	s_cmp_eq_i32 s7, 2                                         // 000000002E18: BF008207
	s_cbranch_scc0 label_09B4                                  // 000000002E1C: BF840025
	ds_read_b128 a[0:3], v29 offset:41216                      // 000000002E20: DBFEA100 0000001D
	ds_read_b128 a[4:7], v29 offset:41280                      // 000000002E28: DBFEA140 0400001D
	ds_read_b128 a[8:11], v29 offset:41344                     // 000000002E30: DBFEA180 0800001D
	ds_read_b128 a[12:15], v29 offset:41408                    // 000000002E38: DBFEA1C0 0C00001D
	ds_read_b128 a[16:19], v29 offset:41472                    // 000000002E40: DBFEA200 1000001D
	ds_read_b128 a[20:23], v29 offset:41536                    // 000000002E48: DBFEA240 1400001D
	ds_read_b128 a[24:27], v29 offset:41600                    // 000000002E50: DBFEA280 1800001D
	ds_read_b128 a[28:31], v29 offset:41664                    // 000000002E58: DBFEA2C0 1C00001D
	ds_read_b128 a[32:35], v29 offset:41728                    // 000000002E60: DBFEA300 2000001D
	ds_read_b128 a[36:39], v29 offset:41792                    // 000000002E68: DBFEA340 2400001D
	ds_read_b128 a[40:43], v29 offset:41856                    // 000000002E70: DBFEA380 2800001D
	ds_read_b128 a[44:47], v29 offset:41920                    // 000000002E78: DBFEA3C0 2C00001D
	ds_read_b128 a[48:51], v29 offset:41984                    // 000000002E80: DBFEA400 3000001D
	ds_read_b128 a[52:55], v29 offset:42048                    // 000000002E88: DBFEA440 3400001D
	ds_read_b128 a[56:59], v29 offset:42112                    // 000000002E90: DBFEA480 3800001D
	ds_read_b128 a[60:63], v29 offset:42176                    // 000000002E98: DBFEA4C0 3C00001D
	ds_read_b128 a[64:67], v29 offset:42240                    // 000000002EA0: DBFEA500 4000001D
	ds_read_b128 a[68:71], v29 offset:42304                    // 000000002EA8: DBFEA540 4400001D
	s_waitcnt lgkmcnt(0)                                       // 000000002EB0: BF8CC07F

0000000000002eb4 <label_09B4>:
	s_waitcnt vmcnt(0)                                         // 000000002EB4: BF8C0F70
	s_barrier                                                  // 000000002EB8: BF8A0000
	s_cmp_eq_i32 s7, 3                                         // 000000002EBC: BF008307
	s_cbranch_scc0 label_0A58                                  // 000000002EC0: BF840025
	ds_read_b128 a[0:3], v29                                   // 000000002EC4: DBFE0000 0000001D
	ds_read_b128 a[4:7], v29 offset:64                         // 000000002ECC: DBFE0040 0400001D
	ds_read_b128 a[8:11], v29 offset:128                       // 000000002ED4: DBFE0080 0800001D
	ds_read_b128 a[12:15], v29 offset:192                      // 000000002EDC: DBFE00C0 0C00001D
	ds_read_b128 a[16:19], v29 offset:256                      // 000000002EE4: DBFE0100 1000001D
	ds_read_b128 a[20:23], v29 offset:320                      // 000000002EEC: DBFE0140 1400001D
	ds_read_b128 a[24:27], v29 offset:384                      // 000000002EF4: DBFE0180 1800001D
	ds_read_b128 a[28:31], v29 offset:448                      // 000000002EFC: DBFE01C0 1C00001D
	ds_read_b128 a[32:35], v29 offset:512                      // 000000002F04: DBFE0200 2000001D
	ds_read_b128 a[36:39], v29 offset:576                      // 000000002F0C: DBFE0240 2400001D
	ds_read_b128 a[40:43], v29 offset:640                      // 000000002F14: DBFE0280 2800001D
	ds_read_b128 a[44:47], v29 offset:704                      // 000000002F1C: DBFE02C0 2C00001D
	ds_read_b128 a[48:51], v29 offset:768                      // 000000002F24: DBFE0300 3000001D
	ds_read_b128 a[52:55], v29 offset:832                      // 000000002F2C: DBFE0340 3400001D
	ds_read_b128 a[56:59], v29 offset:896                      // 000000002F34: DBFE0380 3800001D
	ds_read_b128 a[60:63], v29 offset:960                      // 000000002F3C: DBFE03C0 3C00001D
	ds_read_b128 a[64:67], v29 offset:1024                     // 000000002F44: DBFE0400 4000001D
	ds_read_b128 a[68:71], v29 offset:1088                     // 000000002F4C: DBFE0440 4400001D
	s_waitcnt lgkmcnt(0)                                       // 000000002F54: BF8CC07F

0000000000002f58 <label_0A58>:
	s_waitcnt vmcnt(0)                                         // 000000002F58: BF8C0F70
	s_barrier                                                  // 000000002F5C: BF8A0000
	s_mov_b32 s52, 0x7060302                                   // 000000002F60: BEB400FF 07060302
	s_mov_b32 s53, 0x5040100                                   // 000000002F68: BEB500FF 05040100
	s_mov_b32 s6, 0x3fb8aa3b                                   // 000000002F70: BE8600FF 3FB8AA3B
	v_mov_b32_e32 v21, s6                                      // 000000002F78: 7E2A0206
	v_mov_b32_e32 v20, s64                                     // 000000002F7C: 7E280240
	v_mul_f32_e32 v20, s6, v20                                 // 000000002F80: 0A282806
	v_rcp_f32_e32 v21, v21                                     // 000000002F84: 7E2A4515
	v_mov_b32_e32 v12, 0xff7fffff                              // 000000002F88: 7E1802FF FF7FFFFF
	v_mov_b32_e32 v13, 0xff7fffff                              // 000000002F90: 7E1A02FF FF7FFFFF
	v_mov_b32_e32 v16, 0                                       // 000000002F98: 7E200280
	v_mov_b32_e32 v17, 0                                       // 000000002F9C: 7E220280
	v_mov_b32_e32 v14, 0                                       // 000000002FA0: 7E1C0280
	v_mov_b32_e32 v15, 0                                       // 000000002FA4: 7E1E0280
	v_mov_b32_e32 v9, s68                                      // 000000002FA8: 7E120244
	v_readfirstlane_b32 s5, v20                                // 000000002FAC: 7E0A0514
	v_readfirstlane_b32 s63, v21                               // 000000002FB0: 7E7E0515
	v_and_b32_e32 v2, 15, v0                                   // 000000002FB4: 2604008F
	v_lshlrev_b32_e32 v2, 2, v2                                // 000000002FB8: 24040482
	s_mul_i32 s56, 0x100, s7                                   // 000000002FBC: 923807FF 00000100
	v_add_u32_e32 v2, s56, v2                                  // 000000002FC4: 68040438
	v_lshlrev_b32_e32 v3, 2, v0                                // 000000002FC8: 24060082
	s_mul_i32 s56, 0x100, s7                                   // 000000002FCC: 923807FF 00000100
	v_add_u32_e32 v3, s56, v3                                  // 000000002FD4: 68060638
	v_and_b32_e32 v20, 31, v0                                  // 000000002FD8: 2628009F
	v_lshlrev_b32_e32 v1, 2, v20                               // 000000002FDC: 24022882
	s_mul_i32 s34, s7, 0x1220                                  // 000000002FE0: 9222FF07 00001220
	s_add_u32 s34, 0, s34                                      // 000000002FE8: 80222280
	s_add_u32 s35, 0x900, s34                                  // 000000002FEC: 802322FF 00000900
	s_add_u32 s36, 0x4880, s34                                 // 000000002FF4: 802422FF 00004880
	s_add_u32 s37, 0x4880, s35                                 // 000000002FFC: 802523FF 00004880
	s_waitcnt vmcnt(0)                                         // 000000003004: BF8C0F70
	v_mul_u32_u24_dpp v18, v10, v9 row_newbcast:0 row_mask:0xf bank_mask:0xf// 000000003008: 102412FA FF01500A
	v_mul_u32_u24_dpp v19, v10, v9 row_newbcast:8 row_mask:0xf bank_mask:0xf// 000000003010: 102612FA FF01580A
	v_add_u32_e32 v18, v18, v1                                 // 000000003018: 68240312
	v_add_u32_e32 v19, v19, v1                                 // 00000000301C: 68260313
	s_mov_b32 m0, s34                                          // 000000003020: BEFC0022
	buffer_load_dword v18, s[20:23], 0 offen lds               // 000000003024: E0511000 80050012
	s_add_u32 m0, 0, s35                                       // 00000000302C: 807C2380
	buffer_load_dword v19, s[20:23], 0 offen lds               // 000000003030: E0511000 80050013
	s_add_u32 m0, 0x80, s34                                    // 000000003038: 807C22FF 00000080
	buffer_load_dword v18, s[20:23], 0 offen offset:128 lds    // 000000003040: E0511080 80050012
	s_add_u32 m0, 0x80, s35                                    // 000000003048: 807C23FF 00000080
	buffer_load_dword v19, s[20:23], 0 offen offset:128 lds    // 000000003050: E0511080 80050013
	s_add_u32 m0, 0x100, s34                                   // 000000003058: 807C22FF 00000100
	buffer_load_dword v18, s[20:23], 0 offen offset:256 lds    // 000000003060: E0511100 80050012
	s_add_u32 m0, 0x100, s35                                   // 000000003068: 807C23FF 00000100
	buffer_load_dword v19, s[20:23], 0 offen offset:256 lds    // 000000003070: E0511100 80050013
	s_add_u32 m0, 0x180, s34                                   // 000000003078: 807C22FF 00000180
	buffer_load_dword v18, s[20:23], 0 offen offset:384 lds    // 000000003080: E0511180 80050012
	s_add_u32 m0, 0x180, s35                                   // 000000003088: 807C23FF 00000180
	buffer_load_dword v19, s[20:23], 0 offen offset:384 lds    // 000000003090: E0511180 80050013
	s_add_u32 m0, 0x200, s34                                   // 000000003098: 807C22FF 00000200
	buffer_load_dword v18, s[20:23], 0 offen offset:512 lds    // 0000000030A0: E0511200 80050012
	s_add_u32 m0, 0x200, s35                                   // 0000000030A8: 807C23FF 00000200
	buffer_load_dword v19, s[20:23], 0 offen offset:512 lds    // 0000000030B0: E0511200 80050013
	s_add_u32 m0, 0x280, s34                                   // 0000000030B8: 807C22FF 00000280
	buffer_load_dword v18, s[20:23], 0 offen offset:640 lds    // 0000000030C0: E0511280 80050012
	s_add_u32 m0, 0x280, s35                                   // 0000000030C8: 807C23FF 00000280
	buffer_load_dword v19, s[20:23], 0 offen offset:640 lds    // 0000000030D0: E0511280 80050013
	s_add_u32 m0, 0x300, s34                                   // 0000000030D8: 807C22FF 00000300
	buffer_load_dword v18, s[20:23], 0 offen offset:768 lds    // 0000000030E0: E0511300 80050012
	s_add_u32 m0, 0x300, s35                                   // 0000000030E8: 807C23FF 00000300
	buffer_load_dword v19, s[20:23], 0 offen offset:768 lds    // 0000000030F0: E0511300 80050013
	s_add_u32 m0, 0x380, s34                                   // 0000000030F8: 807C22FF 00000380
	buffer_load_dword v18, s[20:23], 0 offen offset:896 lds    // 000000003100: E0511380 80050012
	s_add_u32 m0, 0x380, s35                                   // 000000003108: 807C23FF 00000380
	buffer_load_dword v19, s[20:23], 0 offen offset:896 lds    // 000000003110: E0511380 80050013
	s_add_u32 m0, 0x400, s34                                   // 000000003118: 807C22FF 00000400
	buffer_load_dword v18, s[20:23], 0 offen offset:1024 lds   // 000000003120: E0511400 80050012
	s_add_u32 m0, 0x400, s35                                   // 000000003128: 807C23FF 00000400
	buffer_load_dword v19, s[20:23], 0 offen offset:1024 lds   // 000000003130: E0511400 80050013
	s_add_u32 m0, 0x480, s34                                   // 000000003138: 807C22FF 00000480
	buffer_load_dword v10, v8, s[24:27], 0 offen               // 000000003140: E0501000 80060A08
	v_add_u32_e32 v8, s73, v8                                  // 000000003148: 68101049
	v_mov_b32_e32 v40, 0                                       // 00000000314C: 7E500280
	v_mov_b32_e32 v41, 0                                       // 000000003150: 7E520280
	v_mov_b32_e32 v42, 0                                       // 000000003154: 7E540280
	v_mov_b32_e32 v43, 0                                       // 000000003158: 7E560280
	v_mov_b32_e32 v44, 0                                       // 00000000315C: 7E580280
	v_mov_b32_e32 v45, 0                                       // 000000003160: 7E5A0280
	v_mov_b32_e32 v46, 0                                       // 000000003164: 7E5C0280
	v_mov_b32_e32 v47, 0                                       // 000000003168: 7E5E0280
	v_mov_b32_e32 v48, 0                                       // 00000000316C: 7E600280
	v_mov_b32_e32 v49, 0                                       // 000000003170: 7E620280
	v_mov_b32_e32 v50, 0                                       // 000000003174: 7E640280
	v_mov_b32_e32 v51, 0                                       // 000000003178: 7E660280
	v_mov_b32_e32 v52, 0                                       // 00000000317C: 7E680280
	v_mov_b32_e32 v53, 0                                       // 000000003180: 7E6A0280
	v_mov_b32_e32 v54, 0                                       // 000000003184: 7E6C0280
	v_mov_b32_e32 v55, 0                                       // 000000003188: 7E6E0280
	v_mov_b32_e32 v56, 0                                       // 00000000318C: 7E700280
	v_mov_b32_e32 v57, 0                                       // 000000003190: 7E720280
	v_mov_b32_e32 v58, 0                                       // 000000003194: 7E740280
	v_mov_b32_e32 v59, 0                                       // 000000003198: 7E760280
	v_mov_b32_e32 v60, 0                                       // 00000000319C: 7E780280
	v_mov_b32_e32 v61, 0                                       // 0000000031A0: 7E7A0280
	v_mov_b32_e32 v62, 0                                       // 0000000031A4: 7E7C0280
	v_mov_b32_e32 v63, 0                                       // 0000000031A8: 7E7E0280
	v_mov_b32_e32 v64, 0                                       // 0000000031AC: 7E800280
	v_mov_b32_e32 v65, 0                                       // 0000000031B0: 7E820280
	v_mov_b32_e32 v66, 0                                       // 0000000031B4: 7E840280
	v_mov_b32_e32 v67, 0                                       // 0000000031B8: 7E860280
	v_mov_b32_e32 v68, 0                                       // 0000000031BC: 7E880280
	v_mov_b32_e32 v69, 0                                       // 0000000031C0: 7E8A0280
	v_mov_b32_e32 v70, 0                                       // 0000000031C4: 7E8C0280
	v_mov_b32_e32 v71, 0                                       // 0000000031C8: 7E8E0280
	v_mov_b32_e32 v72, 0                                       // 0000000031CC: 7E900280
	v_mov_b32_e32 v73, 0                                       // 0000000031D0: 7E920280
	v_mov_b32_e32 v74, 0                                       // 0000000031D4: 7E940280
	v_mov_b32_e32 v75, 0                                       // 0000000031D8: 7E960280
	v_mov_b32_e32 v76, 0                                       // 0000000031DC: 7E980280
	v_mov_b32_e32 v77, 0                                       // 0000000031E0: 7E9A0280
	v_mov_b32_e32 v78, 0                                       // 0000000031E4: 7E9C0280
	v_mov_b32_e32 v79, 0                                       // 0000000031E8: 7E9E0280
	v_mov_b32_e32 v80, 0                                       // 0000000031EC: 7EA00280
	v_mov_b32_e32 v81, 0                                       // 0000000031F0: 7EA20280
	v_mov_b32_e32 v82, 0                                       // 0000000031F4: 7EA40280
	v_mov_b32_e32 v83, 0                                       // 0000000031F8: 7EA60280
	v_mov_b32_e32 v84, 0                                       // 0000000031FC: 7EA80280
	v_mov_b32_e32 v85, 0                                       // 000000003200: 7EAA0280
	v_mov_b32_e32 v86, 0                                       // 000000003204: 7EAC0280
	v_mov_b32_e32 v87, 0                                       // 000000003208: 7EAE0280
	v_mov_b32_e32 v88, 0                                       // 00000000320C: 7EB00280
	v_mov_b32_e32 v89, 0                                       // 000000003210: 7EB20280
	v_mov_b32_e32 v90, 0                                       // 000000003214: 7EB40280
	v_mov_b32_e32 v91, 0                                       // 000000003218: 7EB60280
	v_mov_b32_e32 v92, 0                                       // 00000000321C: 7EB80280
	v_mov_b32_e32 v93, 0                                       // 000000003220: 7EBA0280
	v_mov_b32_e32 v94, 0                                       // 000000003224: 7EBC0280
	v_mov_b32_e32 v95, 0                                       // 000000003228: 7EBE0280
	v_mov_b32_e32 v96, 0                                       // 00000000322C: 7EC00280
	v_mov_b32_e32 v97, 0                                       // 000000003230: 7EC20280
	v_mov_b32_e32 v98, 0                                       // 000000003234: 7EC40280
	v_mov_b32_e32 v99, 0                                       // 000000003238: 7EC60280
	v_mov_b32_e32 v100, 0                                      // 00000000323C: 7EC80280
	v_mov_b32_e32 v101, 0                                      // 000000003240: 7ECA0280
	v_mov_b32_e32 v102, 0                                      // 000000003244: 7ECC0280
	v_mov_b32_e32 v103, 0                                      // 000000003248: 7ECE0280
	v_mov_b32_e32 v104, 0                                      // 00000000324C: 7ED00280
	v_mov_b32_e32 v105, 0                                      // 000000003250: 7ED20280
	v_mov_b32_e32 v106, 0                                      // 000000003254: 7ED40280
	v_mov_b32_e32 v107, 0                                      // 000000003258: 7ED60280
	v_mov_b32_e32 v108, 0                                      // 00000000325C: 7ED80280
	v_mov_b32_e32 v109, 0                                      // 000000003260: 7EDA0280
	v_mov_b32_e32 v110, 0                                      // 000000003264: 7EDC0280
	v_mov_b32_e32 v111, 0                                      // 000000003268: 7EDE0280
	v_mov_b32_e32 v112, 0                                      // 00000000326C: 7EE00280
	v_mov_b32_e32 v113, 0                                      // 000000003270: 7EE20280
	v_mov_b32_e32 v114, 0                                      // 000000003274: 7EE40280
	v_mov_b32_e32 v115, 0                                      // 000000003278: 7EE60280
	v_mov_b32_e32 v116, 0                                      // 00000000327C: 7EE80280
	v_mov_b32_e32 v117, 0                                      // 000000003280: 7EEA0280
	v_mov_b32_e32 v118, 0                                      // 000000003284: 7EEC0280
	v_mov_b32_e32 v119, 0                                      // 000000003288: 7EEE0280
	v_mov_b32_e32 v120, 0                                      // 00000000328C: 7EF00280
	v_mov_b32_e32 v121, 0                                      // 000000003290: 7EF20280
	v_mov_b32_e32 v122, 0                                      // 000000003294: 7EF40280
	v_mov_b32_e32 v123, 0                                      // 000000003298: 7EF60280
	v_mov_b32_e32 v124, 0                                      // 00000000329C: 7EF80280
	v_mov_b32_e32 v125, 0                                      // 0000000032A0: 7EFA0280
	v_mov_b32_e32 v126, 0                                      // 0000000032A4: 7EFC0280
	v_mov_b32_e32 v127, 0                                      // 0000000032A8: 7EFE0280
	v_mov_b32_e32 v128, 0                                      // 0000000032AC: 7F000280
	v_mov_b32_e32 v129, 0                                      // 0000000032B0: 7F020280
	v_mov_b32_e32 v130, 0                                      // 0000000032B4: 7F040280
	v_mov_b32_e32 v131, 0                                      // 0000000032B8: 7F060280
	v_mov_b32_e32 v132, 0                                      // 0000000032BC: 7F080280
	v_mov_b32_e32 v133, 0                                      // 0000000032C0: 7F0A0280
	v_mov_b32_e32 v134, 0                                      // 0000000032C4: 7F0C0280
	v_mov_b32_e32 v135, 0                                      // 0000000032C8: 7F0E0280
	v_mov_b32_e32 v136, 0                                      // 0000000032CC: 7F100280
	v_mov_b32_e32 v137, 0                                      // 0000000032D0: 7F120280
	v_mov_b32_e32 v138, 0                                      // 0000000032D4: 7F140280
	v_mov_b32_e32 v139, 0                                      // 0000000032D8: 7F160280
	v_mov_b32_e32 v140, 0                                      // 0000000032DC: 7F180280
	v_mov_b32_e32 v141, 0                                      // 0000000032E0: 7F1A0280
	v_mov_b32_e32 v142, 0                                      // 0000000032E4: 7F1C0280
	v_mov_b32_e32 v143, 0                                      // 0000000032E8: 7F1E0280
	v_mov_b32_e32 v144, 0                                      // 0000000032EC: 7F200280
	v_mov_b32_e32 v145, 0                                      // 0000000032F0: 7F220280
	v_mov_b32_e32 v146, 0                                      // 0000000032F4: 7F240280
	v_mov_b32_e32 v147, 0                                      // 0000000032F8: 7F260280
	v_mov_b32_e32 v148, 0                                      // 0000000032FC: 7F280280
	v_mov_b32_e32 v149, 0                                      // 000000003300: 7F2A0280
	v_mov_b32_e32 v150, 0                                      // 000000003304: 7F2C0280
	v_mov_b32_e32 v151, 0                                      // 000000003308: 7F2E0280
	v_mov_b32_e32 v152, 0                                      // 00000000330C: 7F300280
	v_mov_b32_e32 v153, 0                                      // 000000003310: 7F320280
	v_mov_b32_e32 v154, 0                                      // 000000003314: 7F340280
	v_mov_b32_e32 v155, 0                                      // 000000003318: 7F360280
	v_mov_b32_e32 v156, 0                                      // 00000000331C: 7F380280
	v_mov_b32_e32 v157, 0                                      // 000000003320: 7F3A0280
	v_mov_b32_e32 v158, 0                                      // 000000003324: 7F3C0280
	v_mov_b32_e32 v159, 0                                      // 000000003328: 7F3E0280
	v_mov_b32_e32 v160, 0                                      // 00000000332C: 7F400280
	v_mov_b32_e32 v161, 0                                      // 000000003330: 7F420280
	v_mov_b32_e32 v162, 0                                      // 000000003334: 7F440280
	v_mov_b32_e32 v163, 0                                      // 000000003338: 7F460280
	v_mov_b32_e32 v164, 0                                      // 00000000333C: 7F480280
	v_mov_b32_e32 v165, 0                                      // 000000003340: 7F4A0280
	v_mov_b32_e32 v166, 0                                      // 000000003344: 7F4C0280
	v_mov_b32_e32 v167, 0                                      // 000000003348: 7F4E0280
	v_lshrrev_b32_e32 v20, 4, v0                               // 00000000334C: 20280084
	v_mul_i32_i24_e32 v21, 4, v20                              // 000000003350: 0C2A2884
	v_and_b32_e32 v20, 15, v0                                  // 000000003354: 2628008F
	v_and_b32_e32 v22, 3, v20                                  // 000000003358: 262C2883
	v_mul_i32_i24_e32 v22, 0x488, v22                          // 00000000335C: 0C2C2CFF 00000488
	v_add_u32_e32 v4, v22, v21                                 // 000000003364: 68082B16
	v_lshrrev_b32_e32 v20, 2, v20                              // 000000003368: 20282882
	v_and_b32_e32 v21, 1, v20                                  // 00000000336C: 262A2881
	v_mul_i32_i24_e32 v21, 32, v21                             // 000000003370: 0C2A2AA0
	v_add_u32_e32 v4, v4, v21                                  // 000000003374: 68082B04
	v_and_b32_e32 v21, 2, v20                                  // 000000003378: 262A2882
	v_mul_i32_i24_e32 v21, 0x120, v21                          // 00000000337C: 0C2A2AFF 00000120
	v_add_u32_e32 v4, v4, v21                                  // 000000003384: 68082B04
	v_lshlrev_b32_e32 v4, 2, v4                                // 000000003388: 24080882
	v_lshrrev_b32_e32 v20, 4, v0                               // 00000000338C: 20280084
	v_and_b32_e32 v21, 1, v20                                  // 000000003390: 262A2881
	v_mul_i32_i24_e32 v5, 32, v21                              // 000000003394: 0C0A2AA0
	v_and_b32_e32 v21, 2, v20                                  // 000000003398: 262A2882
	v_mul_i32_i24_e32 v21, 0x120, v21                          // 00000000339C: 0C2A2AFF 00000120
	v_add_u32_e32 v5, v5, v21                                  // 0000000033A4: 680A2B05
	v_and_b32_e32 v20, 15, v0                                  // 0000000033A8: 2628008F
	v_mul_i32_i24_e32 v21, 2, v20                              // 0000000033AC: 0C2A2882
	v_add_u32_e32 v5, v5, v21                                  // 0000000033B0: 680A2B05
	s_mul_i32 s56, 64, s7                                      // 0000000033B4: 923807C0
	v_add_u32_e64 v5, v5, s56                                  // 0000000033B8: D1340005 00007105
	v_lshlrev_b32_e32 v5, 2, v5                                // 0000000033C0: 240A0A82
	v_lshlrev_b32_e32 v6, 2, v0                                // 0000000033C4: 240C0082
	s_mul_i32 s56, 0x200, s7                                   // 0000000033C8: 923807FF 00000200
	v_add_u32_e64 v6, v6, s56                                  // 0000000033D0: D1340006 00007106
	v_lshlrev_b32_e32 v6, 2, v6                                // 0000000033D8: 240C0C82
	v_lshlrev_b32_e32 v7, 4, v0                                // 0000000033DC: 240E0084
	v_mul_u32_u24_dpp v18, v11, v9 row_newbcast:0 row_mask:0xf bank_mask:0xf// 0000000033E0: 102412FA FF01500B
	v_mul_u32_u24_dpp v19, v11, v9 row_newbcast:8 row_mask:0xf bank_mask:0xf// 0000000033E8: 102612FA FF01580B
	v_add_u32_e32 v18, v18, v1                                 // 0000000033F0: 68240312
	v_add_u32_e32 v19, v19, v1                                 // 0000000033F4: 68260313
	s_mov_b32 m0, s36                                          // 0000000033F8: BEFC0024
	buffer_load_dword v11, v8, s[24:27], 0 offen               // 0000000033FC: E0501000 80060B08
	v_add_u32_e32 v8, s73, v8                                  // 000000003404: 68101049
	buffer_load_dword v18, s[20:23], 0 offen lds               // 000000003408: E0511000 80050012
	s_add_u32 m0, 0, s37                                       // 000000003410: 807C2580
	buffer_load_dword v19, s[20:23], 0 offen lds               // 000000003414: E0511000 80050013
	s_add_u32 m0, 0x80, s36                                    // 00000000341C: 807C24FF 00000080
	buffer_load_dword v18, s[20:23], 0 offen offset:128 lds    // 000000003424: E0511080 80050012
	s_add_u32 m0, 0x80, s37                                    // 00000000342C: 807C25FF 00000080
	buffer_load_dword v19, s[20:23], 0 offen offset:128 lds    // 000000003434: E0511080 80050013
	s_add_u32 m0, 0x100, s36                                   // 00000000343C: 807C24FF 00000100
	buffer_load_dword v18, s[20:23], 0 offen offset:256 lds    // 000000003444: E0511100 80050012
	s_add_u32 m0, 0x100, s37                                   // 00000000344C: 807C25FF 00000100
	buffer_load_dword v19, s[20:23], 0 offen offset:256 lds    // 000000003454: E0511100 80050013
	s_add_u32 m0, 0x180, s36                                   // 00000000345C: 807C24FF 00000180
	buffer_load_dword v18, s[20:23], 0 offen offset:384 lds    // 000000003464: E0511180 80050012
	s_add_u32 m0, 0x180, s37                                   // 00000000346C: 807C25FF 00000180
	buffer_load_dword v19, s[20:23], 0 offen offset:384 lds    // 000000003474: E0511180 80050013
	s_add_u32 m0, 0x200, s36                                   // 00000000347C: 807C24FF 00000200
	buffer_load_dword v18, s[20:23], 0 offen offset:512 lds    // 000000003484: E0511200 80050012
	s_add_u32 m0, 0x200, s37                                   // 00000000348C: 807C25FF 00000200
	buffer_load_dword v19, s[20:23], 0 offen offset:512 lds    // 000000003494: E0511200 80050013
	s_add_u32 m0, 0x280, s36                                   // 00000000349C: 807C24FF 00000280
	buffer_load_dword v18, s[20:23], 0 offen offset:640 lds    // 0000000034A4: E0511280 80050012
	s_add_u32 m0, 0x280, s37                                   // 0000000034AC: 807C25FF 00000280
	buffer_load_dword v19, s[20:23], 0 offen offset:640 lds    // 0000000034B4: E0511280 80050013
	s_add_u32 m0, 0x300, s36                                   // 0000000034BC: 807C24FF 00000300
	buffer_load_dword v18, s[20:23], 0 offen offset:768 lds    // 0000000034C4: E0511300 80050012
	s_add_u32 m0, 0x300, s37                                   // 0000000034CC: 807C25FF 00000300
	buffer_load_dword v19, s[20:23], 0 offen offset:768 lds    // 0000000034D4: E0511300 80050013
	s_add_u32 m0, 0x380, s36                                   // 0000000034DC: 807C24FF 00000380
	buffer_load_dword v18, s[20:23], 0 offen offset:896 lds    // 0000000034E4: E0511380 80050012
	s_add_u32 m0, 0x380, s37                                   // 0000000034EC: 807C25FF 00000380
	buffer_load_dword v19, s[20:23], 0 offen offset:896 lds    // 0000000034F4: E0511380 80050013
	s_add_u32 m0, 0x400, s36                                   // 0000000034FC: 807C24FF 00000400
	buffer_load_dword v18, s[20:23], 0 offen offset:1024 lds   // 000000003504: E0511400 80050012
	s_add_u32 m0, 0x400, s37                                   // 00000000350C: 807C25FF 00000400
	buffer_load_dword v19, s[20:23], 0 offen offset:1024 lds   // 000000003514: E0511400 80050013
	s_add_u32 m0, 0x480, s36                                   // 00000000351C: 807C24FF 00000480
	s_waitcnt vmcnt(19) lgkmcnt(0)                             // 000000003524: BF8C4073
	s_barrier                                                  // 000000003528: BF8A0000
	v_mul_u32_u24_dpp v18, v10, v9 row_newbcast:0 row_mask:0xf bank_mask:0xf// 00000000352C: 102412FA FF01500A
	v_mul_u32_u24_dpp v19, v10, v9 row_newbcast:8 row_mask:0xf bank_mask:0xf// 000000003534: 102612FA FF01580A
	v_add_u32_e32 v18, v18, v1                                 // 00000000353C: 68240312
	v_add_u32_e32 v19, v19, v1                                 // 000000003540: 68260313
	s_mov_b32 m0, s34                                          // 000000003544: BEFC0022
	ds_read_b128 a[144:147], v4                                // 000000003548: DBFE0000 90000004
	ds_read_b128 a[148:151], v4 offset:64                      // 000000003550: DBFE0040 94000004
	ds_read_b128 a[152:155], v4 offset:256                     // 000000003558: DBFE0100 98000004
	ds_read_b128 a[156:159], v4 offset:320                     // 000000003560: DBFE0140 9C000004
	ds_read_b128 a[160:163], v4 offset:512                     // 000000003568: DBFE0200 A0000004
	ds_read_b128 a[164:167], v4 offset:576                     // 000000003570: DBFE0240 A4000004
	ds_read_b128 a[168:171], v4 offset:768                     // 000000003578: DBFE0300 A8000004
	ds_read_b128 a[172:175], v4 offset:832                     // 000000003580: DBFE0340 AC000004
	ds_read_b128 a[176:179], v4 offset:1024                    // 000000003588: DBFE0400 B0000004
	ds_read_b128 a[180:183], v4 offset:1088                    // 000000003590: DBFE0440 B4000004
	ds_read_b128 a[184:187], v4 offset:1280                    // 000000003598: DBFE0500 B8000004
	ds_read_b128 a[188:191], v4 offset:1344                    // 0000000035A0: DBFE0540 BC000004
	ds_read_b128 a[192:195], v4 offset:1536                    // 0000000035A8: DBFE0600 C0000004
	ds_read_b128 a[196:199], v4 offset:1600                    // 0000000035B0: DBFE0640 C4000004
	ds_read_b128 a[200:203], v4 offset:1792                    // 0000000035B8: DBFE0700 C8000004
	ds_read_b128 a[204:207], v4 offset:1856                    // 0000000035C0: DBFE0740 CC000004
	ds_read_b128 a[208:211], v4 offset:2048                    // 0000000035C8: DBFE0800 D0000004
	ds_read_b128 a[212:215], v4 offset:2112                    // 0000000035D0: DBFE0840 D4000004
	ds_read_b64 v[20:21], v5                                   // 0000000035D8: D8EC0000 14000005
	ds_read_b64 v[22:23], v5 offset:4640                       // 0000000035E0: D8EC1220 16000005
	ds_read_b64 v[24:25], v5 offset:9280                       // 0000000035E8: D8EC2440 18000005
	ds_read_b64 v[26:27], v5 offset:13920                      // 0000000035F0: D8EC3660 1A000005
	s_waitcnt lgkmcnt(0)                                       // 0000000035F8: BF8CC07F
	v_perm_b32 v168, v22, v20, s53                             // 0000000035FC: D1ED00A8 00D62916
	v_perm_b32 v170, v22, v20, s52                             // 000000003604: D1ED00AA 00D22916
	v_perm_b32 v169, v26, v24, s53                             // 00000000360C: D1ED00A9 00D6311A
	v_perm_b32 v171, v26, v24, s52                             // 000000003614: D1ED00AB 00D2311A
	ds_write_b128 v6, v[168:171] offset:37120                  // 00000000361C: D9BE9100 0000A806
	v_perm_b32 v168, v23, v21, s53                             // 000000003624: D1ED00A8 00D62B17
	v_perm_b32 v170, v23, v21, s52                             // 00000000362C: D1ED00AA 00D22B17
	v_perm_b32 v169, v27, v25, s53                             // 000000003634: D1ED00A9 00D6331B
	v_perm_b32 v171, v27, v25, s52                             // 00000000363C: D1ED00AB 00D2331B
	ds_write_b128 v6, v[168:171] offset:38144                  // 000000003644: D9BE9500 0000A806
	ds_read_b64 v[20:21], v5 offset:1024                       // 00000000364C: D8EC0400 14000005
	ds_read_b64 v[22:23], v5 offset:5664                       // 000000003654: D8EC1620 16000005
	ds_read_b64 v[24:25], v5 offset:10304                      // 00000000365C: D8EC2840 18000005
	ds_read_b64 v[26:27], v5 offset:14944                      // 000000003664: D8EC3A60 1A000005
	s_waitcnt lgkmcnt(0)                                       // 00000000366C: BF8CC07F
	v_perm_b32 v168, v22, v20, s53                             // 000000003670: D1ED00A8 00D62916
	v_perm_b32 v170, v22, v20, s52                             // 000000003678: D1ED00AA 00D22916
	v_perm_b32 v169, v26, v24, s53                             // 000000003680: D1ED00A9 00D6311A
	v_perm_b32 v171, v26, v24, s52                             // 000000003688: D1ED00AB 00D2311A
	ds_write_b128 v6, v[168:171] offset:45312                  // 000000003690: D9BEB100 0000A806
	v_perm_b32 v168, v23, v21, s53                             // 000000003698: D1ED00A8 00D62B17
	v_perm_b32 v170, v23, v21, s52                             // 0000000036A0: D1ED00AA 00D22B17
	v_perm_b32 v169, v27, v25, s53                             // 0000000036A8: D1ED00A9 00D6331B
	v_perm_b32 v171, v27, v25, s52                             // 0000000036B0: D1ED00AB 00D2331B
	ds_write_b128 v6, v[168:171] offset:46336                  // 0000000036B8: D9BEB500 0000A806
	s_nop 0                                                    // 0000000036C0: BF800000
	s_cmp_lt_u32 s71, 1                                        // 0000000036C4: BF0A8147
	s_cbranch_scc1 label_3830                                  // 0000000036C8: BF850999
	s_cmp_lt_i32 s7, 2                                         // 0000000036CC: BF048207
	s_cbranch_scc0 label_2504                                  // 0000000036D0: BF8404CC

00000000000036d4 <label_11D4>:
	s_waitcnt lgkmcnt(4)                                       // 0000000036D4: BF8CC47F
	v_mfma_f32_16x16x16_bf16 v[32:35], a[144:145], a[0:1], 0   // 0000000036D8: D3E10020 1A020190
	ds_read_b128 a[176:179], v4 offset:1024                    // 0000000036E0: DBFE0400 B0000004
	ds_read_b128 a[180:183], v4 offset:1088                    // 0000000036E8: DBFE0440 B4000004
	v_mfma_f32_16x16x16_bf16 v[32:35], a[146:147], a[2:3], v[32:35]// 0000000036F0: D3E10020 1C820592
	buffer_load_dword v10, v8, s[24:27], 0 offen               // 0000000036F8: E0501000 80060A08
	v_mfma_f32_16x16x16_bf16 v[32:35], a[148:149], a[4:5], v[32:35]// 000000003700: D3E10020 1C820994
	v_mfma_f32_16x16x16_bf16 v[32:35], a[150:151], a[6:7], v[32:35]// 000000003708: D3E10020 1C820D96
	v_mfma_f32_16x16x16_bf16 v[32:35], a[152:153], a[8:9], v[32:35]// 000000003710: D3E10020 1C821198
	ds_read_b128 a[184:187], v4 offset:1280                    // 000000003718: DBFE0500 B8000004
	ds_read_b128 a[188:191], v4 offset:1344                    // 000000003720: DBFE0540 BC000004
	v_mfma_f32_16x16x16_bf16 v[32:35], a[154:155], a[10:11], v[32:35]// 000000003728: D3E10020 1C82159A
	v_mfma_f32_16x16x16_bf16 v[32:35], a[156:157], a[12:13], v[32:35]// 000000003730: D3E10020 1C82199C
	v_mfma_f32_16x16x16_bf16 v[32:35], a[158:159], a[14:15], v[32:35]// 000000003738: D3E10020 1C821D9E
	s_waitcnt lgkmcnt(4)                                       // 000000003740: BF8CC47F
	v_mfma_f32_16x16x16_bf16 v[32:35], a[160:161], a[16:17], v[32:35]// 000000003744: D3E10020 1C8221A0
	ds_read_b128 a[192:195], v4 offset:1536                    // 00000000374C: DBFE0600 C0000004
	ds_read_b128 a[196:199], v4 offset:1600                    // 000000003754: DBFE0640 C4000004
	v_mfma_f32_16x16x16_bf16 v[32:35], a[162:163], a[18:19], v[32:35]// 00000000375C: D3E10020 1C8225A2
	v_mfma_f32_16x16x16_bf16 v[32:35], a[164:165], a[20:21], v[32:35]// 000000003764: D3E10020 1C8229A4
	v_mfma_f32_16x16x16_bf16 v[32:35], a[166:167], a[22:23], v[32:35]// 00000000376C: D3E10020 1C822DA6
	v_mfma_f32_16x16x16_bf16 v[32:35], a[168:169], a[24:25], v[32:35]// 000000003774: D3E10020 1C8231A8
	ds_read_b128 a[200:203], v4 offset:1792                    // 00000000377C: DBFE0700 C8000004
	ds_read_b128 a[204:207], v4 offset:1856                    // 000000003784: DBFE0740 CC000004
	v_mfma_f32_16x16x16_bf16 v[32:35], a[170:171], a[26:27], v[32:35]// 00000000378C: D3E10020 1C8235AA
	v_mfma_f32_16x16x16_bf16 v[32:35], a[172:173], a[28:29], v[32:35]// 000000003794: D3E10020 1C8239AC
	v_mfma_f32_16x16x16_bf16 v[32:35], a[174:175], a[30:31], v[32:35]// 00000000379C: D3E10020 1C823DAE
	s_waitcnt lgkmcnt(4)                                       // 0000000037A4: BF8CC47F
	s_barrier                                                  // 0000000037A8: BF8A0000
	v_mfma_f32_16x16x16_bf16 v[32:35], a[176:177], a[32:33], v[32:35]// 0000000037AC: D3E10020 1C8241B0
	ds_read_b128 a[208:211], v4 offset:2048                    // 0000000037B4: DBFE0800 D0000004
	ds_read_b128 a[212:215], v4 offset:2112                    // 0000000037BC: DBFE0840 D4000004
	v_mfma_f32_16x16x16_bf16 v[32:35], a[178:179], a[34:35], v[32:35]// 0000000037C4: D3E10020 1C8245B2
	v_mfma_f32_16x16x16_bf16 v[32:35], a[180:181], a[36:37], v[32:35]// 0000000037CC: D3E10020 1C8249B4
	v_perm_b32 v168, v22, v20, s53                             // 0000000037D4: D1ED00A8 00D62916
	v_perm_b32 v170, v22, v20, s52                             // 0000000037DC: D1ED00AA 00D22916
	v_perm_b32 v169, v26, v24, s53                             // 0000000037E4: D1ED00A9 00D6311A
	v_perm_b32 v171, v26, v24, s52                             // 0000000037EC: D1ED00AB 00D2311A
	v_mfma_f32_16x16x16_bf16 v[32:35], a[182:183], a[38:39], v[32:35]// 0000000037F4: D3E10020 1C824DB6
	buffer_load_dword v18, s[20:23], 0 offen lds               // 0000000037FC: E0511000 80050012
	s_add_u32 m0, 0, s35                                       // 000000003804: 807C2380
	v_mfma_f32_16x16x16_bf16 v[32:35], a[184:185], a[40:41], v[32:35]// 000000003808: D3E10020 1C8251B8
	ds_write_b128 v6, v[168:171] offset:45312                  // 000000003810: D9BEB100 0000A806
	v_mfma_f32_16x16x16_bf16 v[32:35], a[186:187], a[42:43], v[32:35]// 000000003818: D3E10020 1C8255BA
	buffer_load_dword v19, s[20:23], 0 offen lds               // 000000003820: E0511000 80050013
	s_add_u32 m0, 0x80, s34                                    // 000000003828: 807C22FF 00000080
	v_mfma_f32_16x16x16_bf16 v[32:35], a[188:189], a[44:45], v[32:35]// 000000003830: D3E10020 1C8259BC
	v_perm_b32 v168, v23, v21, s53                             // 000000003838: D1ED00A8 00D62B17
	v_perm_b32 v170, v23, v21, s52                             // 000000003840: D1ED00AA 00D22B17
	v_perm_b32 v169, v27, v25, s53                             // 000000003848: D1ED00A9 00D6331B
	v_perm_b32 v171, v27, v25, s52                             // 000000003850: D1ED00AB 00D2331B
	v_mfma_f32_16x16x16_bf16 v[32:35], a[190:191], a[46:47], v[32:35]// 000000003858: D3E10020 1C825DBE
	buffer_load_dword v18, s[20:23], 0 offen offset:128 lds    // 000000003860: E0511080 80050012
	s_add_u32 m0, 0x80, s35                                    // 000000003868: 807C23FF 00000080
	s_waitcnt lgkmcnt(1)                                       // 000000003870: BF8CC17F
	v_mfma_f32_16x16x16_bf16 v[32:35], a[192:193], a[48:49], v[32:35]// 000000003874: D3E10020 1C8261C0
	ds_write_b128 v6, v[168:171] offset:46336                  // 00000000387C: D9BEB500 0000A806
	v_mfma_f32_16x16x16_bf16 v[32:35], a[194:195], a[50:51], v[32:35]// 000000003884: D3E10020 1C8265C2
	buffer_load_dword v19, s[20:23], 0 offen offset:128 lds    // 00000000388C: E0511080 80050013
	s_add_u32 m0, 0x100, s34                                   // 000000003894: 807C22FF 00000100
	v_mfma_f32_16x16x16_bf16 v[32:35], a[196:197], a[52:53], v[32:35]// 00000000389C: D3E10020 1C8269C4
	v_mfma_f32_16x16x16_bf16 v[32:35], a[198:199], a[54:55], v[32:35]// 0000000038A4: D3E10020 1C826DC6
	buffer_load_dword v18, s[20:23], 0 offen offset:256 lds    // 0000000038AC: E0511100 80050012
	s_add_u32 m0, 0x100, s35                                   // 0000000038B4: 807C23FF 00000100
	v_mfma_f32_16x16x16_bf16 v[32:35], a[200:201], a[56:57], v[32:35]// 0000000038BC: D3E10020 1C8271C8
	v_mfma_f32_16x16x16_bf16 v[32:35], a[202:203], a[58:59], v[32:35]// 0000000038C4: D3E10020 1C8275CA
	buffer_load_dword v19, s[20:23], 0 offen offset:256 lds    // 0000000038CC: E0511100 80050013
	s_add_u32 m0, 0x180, s34                                   // 0000000038D4: 807C22FF 00000180
	v_mfma_f32_16x16x16_bf16 v[32:35], a[204:205], a[60:61], v[32:35]// 0000000038DC: D3E10020 1C8279CC
	v_mfma_f32_16x16x16_bf16 v[32:35], a[206:207], a[62:63], v[32:35]// 0000000038E4: D3E10020 1C827DCE
	buffer_load_dword v18, s[20:23], 0 offen offset:384 lds    // 0000000038EC: E0511180 80050012
	s_add_u32 m0, 0x180, s35                                   // 0000000038F4: 807C23FF 00000180
	v_mfma_f32_16x16x16_bf16 v[32:35], a[208:209], a[64:65], v[32:35]// 0000000038FC: D3E10020 1C8281D0
	v_mfma_f32_16x16x16_bf16 v[32:35], a[210:211], a[66:67], v[32:35]// 000000003904: D3E10020 1C8285D2
	buffer_load_dword v19, s[20:23], 0 offen offset:384 lds    // 00000000390C: E0511180 80050013
	s_add_u32 m0, 0x200, s34                                   // 000000003914: 807C22FF 00000200
	v_mfma_f32_16x16x16_bf16 v[32:35], a[212:213], a[68:69], v[32:35]// 00000000391C: D3E10020 1C8289D4
	v_mfma_f32_16x16x16_bf16 v[32:35], a[214:215], a[70:71], v[32:35]// 000000003924: D3E10020 1C828DD6
	buffer_load_dword v18, s[20:23], 0 offen offset:512 lds    // 00000000392C: E0511200 80050012
	s_add_u32 m0, 0x200, s35                                   // 000000003934: 807C23FF 00000200
	v_add_u32_e32 v8, s73, v8                                  // 00000000393C: 68101049
	s_cmp_le_i32 s83, s82                                      // 000000003940: BF055253
	s_cbranch_scc1 label_14D8                                  // 000000003944: BF850024
	v_mov_b32_e32 v25, 0xff800000                              // 000000003948: 7E3202FF FF800000
	s_add_u32 s57, s82, 0                                      // 000000003950: 80398052
	v_mov_b32_e32 v24, s57                                     // 000000003954: 7E300239
	v_add_u32_e32 v24, s7, v24                                 // 000000003958: 68303007
	s_sub_u32 s56, s83, 15                                     // 00000000395C: 80B88F53
	v_lshrrev_b32_e32 v20, 4, v0                               // 000000003960: 20280084
	v_mul_i32_i24_e32 v20, 4, v20                              // 000000003964: 0C282884
	v_add_u32_e32 v20, s56, v20                                // 000000003968: 68282838
	v_add_u32_e32 v21, 1, v20                                  // 00000000396C: 682A2881
	v_add_u32_e32 v22, 2, v20                                  // 000000003970: 682C2882
	v_add_u32_e32 v23, 3, v20                                  // 000000003974: 682E2883
	v_cmp_le_u32_e64 s[38:39], v20, v24                        // 000000003978: D0CB0026 00023114
	v_add_u32_e32 v20, 64, v20                                 // 000000003980: 682828C0
	s_nop 0                                                    // 000000003984: BF800000
	v_cndmask_b32_e64 v32, v25, v32, s[38:39]                  // 000000003988: D1000020 009A4119
	v_cmp_le_u32_e64 s[38:39], v21, v24                        // 000000003990: D0CB0026 00023115
	v_add_u32_e32 v21, 64, v21                                 // 000000003998: 682A2AC0
	s_nop 0                                                    // 00000000399C: BF800000
	v_cndmask_b32_e64 v33, v25, v33, s[38:39]                  // 0000000039A0: D1000021 009A4319
	v_cmp_le_u32_e64 s[38:39], v22, v24                        // 0000000039A8: D0CB0026 00023116
	v_add_u32_e32 v22, 64, v22                                 // 0000000039B0: 682C2CC0
	s_nop 0                                                    // 0000000039B4: BF800000
	v_cndmask_b32_e64 v34, v25, v34, s[38:39]                  // 0000000039B8: D1000022 009A4519
	v_cmp_le_u32_e64 s[38:39], v23, v24                        // 0000000039C0: D0CB0026 00023117
	v_add_u32_e32 v23, 64, v23                                 // 0000000039C8: 682E2EC0
	s_nop 0                                                    // 0000000039CC: BF800000
	v_cndmask_b32_e64 v35, v25, v35, s[38:39]                  // 0000000039D0: D1000023 009A4719

00000000000039d8 <label_14D8>:
	s_waitcnt lgkmcnt(0)                                       // 0000000039D8: BF8CC07F
	s_barrier                                                  // 0000000039DC: BF8A0000
	v_max3_f32 v24, v32, v33, v32                              // 0000000039E0: D1D30018 04824320
	v_max3_f32 v24, v34, v35, v24                              // 0000000039E8: D1D30018 04624722
	ds_write_b32 v3, v24 offset:53504                          // 0000000039F0: D81AD100 00001803
	buffer_load_dword v19, s[20:23], 0 offen offset:512 lds    // 0000000039F8: E0511200 80050013
	s_add_u32 m0, 0x280, s34                                   // 000000003A00: 807C22FF 00000280
	buffer_load_dword v18, s[20:23], 0 offen offset:640 lds    // 000000003A08: E0511280 80050012
	s_add_u32 m0, 0x280, s35                                   // 000000003A10: 807C23FF 00000280
	s_waitcnt lgkmcnt(0)                                       // 000000003A18: BF8CC07F
	ds_read_b32 v20, v2 offset:53504                           // 000000003A1C: D86CD100 14000002
	ds_read_b32 v21, v2 offset:53568                           // 000000003A24: D86CD140 15000002
	ds_read_b32 v22, v2 offset:53632                           // 000000003A2C: D86CD180 16000002
	ds_read_b32 v23, v2 offset:53696                           // 000000003A34: D86CD1C0 17000002
	buffer_load_dword v19, s[20:23], 0 offen offset:640 lds    // 000000003A3C: E0511280 80050013
	s_add_u32 m0, 0x300, s34                                   // 000000003A44: 807C22FF 00000300
	buffer_load_dword v18, s[20:23], 0 offen offset:768 lds    // 000000003A4C: E0511300 80050012
	s_add_u32 m0, 0x300, s35                                   // 000000003A54: 807C23FF 00000300
	buffer_load_dword v19, s[20:23], 0 offen offset:768 lds    // 000000003A5C: E0511300 80050013
	s_add_u32 m0, 0x380, s34                                   // 000000003A64: 807C22FF 00000380
	s_waitcnt lgkmcnt(0)                                       // 000000003A6C: BF8CC07F
	v_max3_f32 v24, v20, v21, v24                              // 000000003A70: D1D30018 04622B14
	v_max3_f32 v24, v22, v23, v24                              // 000000003A78: D1D30018 04622F16
	buffer_load_dword v18, s[20:23], 0 offen offset:896 lds    // 000000003A80: E0511380 80050012
	s_add_u32 m0, 0x380, s35                                   // 000000003A88: 807C23FF 00000380
	buffer_load_dword v19, s[20:23], 0 offen offset:896 lds    // 000000003A90: E0511380 80050013
	s_add_u32 m0, 0x400, s34                                   // 000000003A98: 807C22FF 00000400
	ds_read_b128 a[144:147], v7 offset:37120                   // 000000003AA0: DBFE9100 90000007
	ds_read_b128 a[148:151], v7 offset:38144                   // 000000003AA8: DBFE9500 94000007
	buffer_load_dword v18, s[20:23], 0 offen offset:1024 lds   // 000000003AB0: E0511400 80050012
	s_add_u32 m0, 0x400, s35                                   // 000000003AB8: 807C23FF 00000400
	ds_read_b128 a[152:155], v7 offset:39168                   // 000000003AC0: DBFE9900 98000007
	ds_read_b128 a[156:159], v7 offset:40192                   // 000000003AC8: DBFE9D00 9C000007
	buffer_load_dword v19, s[20:23], 0 offen offset:1024 lds   // 000000003AD0: E0511400 80050013
	s_add_u32 m0, 0x480, s34                                   // 000000003AD8: 807C22FF 00000480
	ds_read_b128 a[160:163], v7 offset:41216                   // 000000003AE0: DBFEA100 A0000007
	ds_read_b128 a[164:167], v7 offset:42240                   // 000000003AE8: DBFEA500 A4000007
	ds_read_b128 a[168:171], v7 offset:43264                   // 000000003AF0: DBFEA900 A8000007
	ds_read_b128 a[172:175], v7 offset:44288                   // 000000003AF8: DBFEAD00 AC000007
	v_mov_b32_e32 v25, 0xff7fffff                              // 000000003B00: 7E3202FF FF7FFFFF
	v_cmp_eq_u32_e64 s[38:39], v25, v12                        // 000000003B08: D0CA0026 00021919
	v_max_f32_e32 v20, v24, v12                                // 000000003B10: 16281918
	v_sub_f32_e32 v16, v12, v20                                // 000000003B14: 0420290C
	v_cndmask_b32_e64 v16, v16, 0, s[38:39]                    // 000000003B18: D1000010 00990110
	v_mov_b32_e32 v12, v20                                     // 000000003B20: 7E180314
	v_mul_f32_e32 v21, s5, v20                                 // 000000003B24: 0A2A2805
	v_mul_f32_e32 v16, s5, v16                                 // 000000003B28: 0A202005
	v_exp_f32_e32 v16, v16                                     // 000000003B2C: 7E204110
	v_fma_f32 v32, v32, s5, -v21                               // 000000003B30: D1CB0020 84540B20
	v_fma_f32 v33, v33, s5, -v21                               // 000000003B38: D1CB0021 84540B21
	v_fma_f32 v34, v34, s5, -v21                               // 000000003B40: D1CB0022 84540B22
	v_fma_f32 v35, v35, s5, -v21                               // 000000003B48: D1CB0023 84540B23
	v_exp_f32_e32 v32, v32                                     // 000000003B50: 7E404120
	v_exp_f32_e32 v33, v33                                     // 000000003B54: 7E424121
	v_exp_f32_e32 v34, v34                                     // 000000003B58: 7E444122
	v_exp_f32_e32 v35, v35                                     // 000000003B5C: 7E464123
	v_mul_f32_e32 v14, v16, v14                                // 000000003B60: 0A1C1D10
	v_mov_b32_e32 v22, v32                                     // 000000003B64: 7E2C0320
	v_add_f32_e32 v22, v33, v22                                // 000000003B68: 022C2D21
	v_add_f32_e32 v22, v34, v22                                // 000000003B6C: 022C2D22
	v_add_f32_e32 v22, v35, v22                                // 000000003B70: 022C2D23
	v_add_f32_e32 v14, v22, v14                                // 000000003B74: 021C1D16
	v_mov_b32_e32 v29, 0xffff0000                              // 000000003B78: 7E3A02FF FFFF0000
	v_mov_b32_e32 v30, 0x7fff0000                              // 000000003B80: 7E3C02FF 7FFF0000
	v_mov_b32_e32 v31, 0x7fff                                  // 000000003B88: 7E3E02FF 00007FFF
	v_cmp_u_f32_e64 s[38:39], v32, v32                         // 000000003B90: D0480026 00024120
	v_add3_u32 v28, v32, v31, 1                                // 000000003B98: D1FF001C 02063F20
	v_cndmask_b32_e64 v20, v28, v30, s[38:39]                  // 000000003BA0: D1000014 009A3D1C
	v_cmp_u_f32_e64 s[38:39], v33, v33                         // 000000003BA8: D0480026 00024321
	v_add3_u32 v28, v33, v31, 1                                // 000000003BB0: D1FF001C 02063F21
	v_cndmask_b32_e64 v21, v28, v30, s[38:39]                  // 000000003BB8: D1000015 009A3D1C
	v_perm_b32 v32, v21, v20, s52                              // 000000003BC0: D1ED0020 00D22915
	v_cmp_u_f32_e64 s[38:39], v34, v34                         // 000000003BC8: D0480026 00024522
	v_add3_u32 v28, v34, v31, 1                                // 000000003BD0: D1FF001C 02063F22
	v_cndmask_b32_e64 v20, v28, v30, s[38:39]                  // 000000003BD8: D1000014 009A3D1C
	v_cmp_u_f32_e64 s[38:39], v35, v35                         // 000000003BE0: D0480026 00024723
	v_add3_u32 v28, v35, v31, 1                                // 000000003BE8: D1FF001C 02063F23
	v_cndmask_b32_e64 v21, v28, v30, s[38:39]                  // 000000003BF0: D1000015 009A3D1C
	v_perm_b32 v33, v21, v20, s52                              // 000000003BF8: D1ED0021 00D22915
	s_nop 2                                                    // 000000003C00: BF800002
	s_add_u32 s83, s84, s83                                    // 000000003C04: 80535354
	s_nop 0                                                    // 000000003C08: BF800000
	v_mul_u32_u24_dpp v18, v11, v9 row_newbcast:0 row_mask:0xf bank_mask:0xf// 000000003C0C: 102412FA FF01500B
	v_mul_u32_u24_dpp v19, v11, v9 row_newbcast:8 row_mask:0xf bank_mask:0xf// 000000003C14: 102612FA FF01580B
	v_add_u32_e32 v18, v18, v1                                 // 000000003C1C: 68240312
	v_add_u32_e32 v19, v19, v1                                 // 000000003C20: 68260313
	s_mov_b32 m0, s36                                          // 000000003C24: BEFC0024
	v_mov_b32_e32 v22, v16                                     // 000000003C28: 7E2C0310
	v_mov_b32_e32 v23, v16                                     // 000000003C2C: 7E2E0310
	v_pk_mul_f32 v[40:41], v[22:23], v[40:41]                  // 000000003C30: D3B14028 18025116
	v_pk_mul_f32 v[42:43], v[22:23], v[42:43]                  // 000000003C38: D3B1402A 18025516
	v_pk_mul_f32 v[44:45], v[22:23], v[44:45]                  // 000000003C40: D3B1402C 18025916
	v_pk_mul_f32 v[46:47], v[22:23], v[46:47]                  // 000000003C48: D3B1402E 18025D16
	v_pk_mul_f32 v[48:49], v[22:23], v[48:49]                  // 000000003C50: D3B14030 18026116
	v_pk_mul_f32 v[50:51], v[22:23], v[50:51]                  // 000000003C58: D3B14032 18026516
	v_pk_mul_f32 v[52:53], v[22:23], v[52:53]                  // 000000003C60: D3B14034 18026916
	v_pk_mul_f32 v[54:55], v[22:23], v[54:55]                  // 000000003C68: D3B14036 18026D16
	v_pk_mul_f32 v[56:57], v[22:23], v[56:57]                  // 000000003C70: D3B14038 18027116
	v_pk_mul_f32 v[58:59], v[22:23], v[58:59]                  // 000000003C78: D3B1403A 18027516
	v_pk_mul_f32 v[60:61], v[22:23], v[60:61]                  // 000000003C80: D3B1403C 18027916
	v_pk_mul_f32 v[62:63], v[22:23], v[62:63]                  // 000000003C88: D3B1403E 18027D16
	v_pk_mul_f32 v[64:65], v[22:23], v[64:65]                  // 000000003C90: D3B14040 18028116
	v_pk_mul_f32 v[66:67], v[22:23], v[66:67]                  // 000000003C98: D3B14042 18028516
	v_pk_mul_f32 v[68:69], v[22:23], v[68:69]                  // 000000003CA0: D3B14044 18028916
	v_pk_mul_f32 v[70:71], v[22:23], v[70:71]                  // 000000003CA8: D3B14046 18028D16
	v_pk_mul_f32 v[72:73], v[22:23], v[72:73]                  // 000000003CB0: D3B14048 18029116
	v_pk_mul_f32 v[74:75], v[22:23], v[74:75]                  // 000000003CB8: D3B1404A 18029516
	v_pk_mul_f32 v[76:77], v[22:23], v[76:77]                  // 000000003CC0: D3B1404C 18029916
	v_pk_mul_f32 v[78:79], v[22:23], v[78:79]                  // 000000003CC8: D3B1404E 18029D16
	v_pk_mul_f32 v[80:81], v[22:23], v[80:81]                  // 000000003CD0: D3B14050 1802A116
	v_pk_mul_f32 v[82:83], v[22:23], v[82:83]                  // 000000003CD8: D3B14052 1802A516
	v_pk_mul_f32 v[84:85], v[22:23], v[84:85]                  // 000000003CE0: D3B14054 1802A916
	v_pk_mul_f32 v[86:87], v[22:23], v[86:87]                  // 000000003CE8: D3B14056 1802AD16
	v_pk_mul_f32 v[88:89], v[22:23], v[88:89]                  // 000000003CF0: D3B14058 1802B116
	v_pk_mul_f32 v[90:91], v[22:23], v[90:91]                  // 000000003CF8: D3B1405A 1802B516
	v_pk_mul_f32 v[92:93], v[22:23], v[92:93]                  // 000000003D00: D3B1405C 1802B916
	v_pk_mul_f32 v[94:95], v[22:23], v[94:95]                  // 000000003D08: D3B1405E 1802BD16
	v_pk_mul_f32 v[96:97], v[22:23], v[96:97]                  // 000000003D10: D3B14060 1802C116
	v_pk_mul_f32 v[98:99], v[22:23], v[98:99]                  // 000000003D18: D3B14062 1802C516
	v_pk_mul_f32 v[100:101], v[22:23], v[100:101]              // 000000003D20: D3B14064 1802C916
	v_pk_mul_f32 v[102:103], v[22:23], v[102:103]              // 000000003D28: D3B14066 1802CD16
	v_pk_mul_f32 v[104:105], v[22:23], v[104:105]              // 000000003D30: D3B14068 1802D116
	v_pk_mul_f32 v[106:107], v[22:23], v[106:107]              // 000000003D38: D3B1406A 1802D516
	v_pk_mul_f32 v[108:109], v[22:23], v[108:109]              // 000000003D40: D3B1406C 1802D916
	v_pk_mul_f32 v[110:111], v[22:23], v[110:111]              // 000000003D48: D3B1406E 1802DD16
	v_pk_mul_f32 v[112:113], v[22:23], v[112:113]              // 000000003D50: D3B14070 1802E116
	v_pk_mul_f32 v[114:115], v[22:23], v[114:115]              // 000000003D58: D3B14072 1802E516
	v_pk_mul_f32 v[116:117], v[22:23], v[116:117]              // 000000003D60: D3B14074 1802E916
	v_pk_mul_f32 v[118:119], v[22:23], v[118:119]              // 000000003D68: D3B14076 1802ED16
	v_pk_mul_f32 v[120:121], v[22:23], v[120:121]              // 000000003D70: D3B14078 1802F116
	v_pk_mul_f32 v[122:123], v[22:23], v[122:123]              // 000000003D78: D3B1407A 1802F516
	v_pk_mul_f32 v[124:125], v[22:23], v[124:125]              // 000000003D80: D3B1407C 1802F916
	v_pk_mul_f32 v[126:127], v[22:23], v[126:127]              // 000000003D88: D3B1407E 1802FD16
	v_pk_mul_f32 v[128:129], v[22:23], v[128:129]              // 000000003D90: D3B14080 18030116
	v_pk_mul_f32 v[130:131], v[22:23], v[130:131]              // 000000003D98: D3B14082 18030516
	v_pk_mul_f32 v[132:133], v[22:23], v[132:133]              // 000000003DA0: D3B14084 18030916
	v_pk_mul_f32 v[134:135], v[22:23], v[134:135]              // 000000003DA8: D3B14086 18030D16
	v_pk_mul_f32 v[136:137], v[22:23], v[136:137]              // 000000003DB0: D3B14088 18031116
	v_pk_mul_f32 v[138:139], v[22:23], v[138:139]              // 000000003DB8: D3B1408A 18031516
	v_pk_mul_f32 v[140:141], v[22:23], v[140:141]              // 000000003DC0: D3B1408C 18031916
	v_pk_mul_f32 v[142:143], v[22:23], v[142:143]              // 000000003DC8: D3B1408E 18031D16
	v_pk_mul_f32 v[144:145], v[22:23], v[144:145]              // 000000003DD0: D3B14090 18032116
	v_pk_mul_f32 v[146:147], v[22:23], v[146:147]              // 000000003DD8: D3B14092 18032516
	v_pk_mul_f32 v[148:149], v[22:23], v[148:149]              // 000000003DE0: D3B14094 18032916
	v_pk_mul_f32 v[150:151], v[22:23], v[150:151]              // 000000003DE8: D3B14096 18032D16
	v_pk_mul_f32 v[152:153], v[22:23], v[152:153]              // 000000003DF0: D3B14098 18033116
	v_pk_mul_f32 v[154:155], v[22:23], v[154:155]              // 000000003DF8: D3B1409A 18033516
	v_pk_mul_f32 v[156:157], v[22:23], v[156:157]              // 000000003E00: D3B1409C 18033916
	v_pk_mul_f32 v[158:159], v[22:23], v[158:159]              // 000000003E08: D3B1409E 18033D16
	v_pk_mul_f32 v[160:161], v[22:23], v[160:161]              // 000000003E10: D3B140A0 18034116
	v_pk_mul_f32 v[162:163], v[22:23], v[162:163]              // 000000003E18: D3B140A2 18034516
	v_pk_mul_f32 v[164:165], v[22:23], v[164:165]              // 000000003E20: D3B140A4 18034916
	v_pk_mul_f32 v[166:167], v[22:23], v[166:167]              // 000000003E28: D3B140A6 18034D16
	s_waitcnt lgkmcnt(0)                                       // 000000003E30: BF8CC07F
	v_mfma_f32_16x16x16_bf16 v[40:43], a[144:145], v[32:33], v[40:43]// 000000003E34: D3E10028 0CA24190
	ds_read_b128 a[176:179], v7 offset:45312                   // 000000003E3C: DBFEB100 B0000007
	ds_read_b128 a[180:183], v7 offset:46336                   // 000000003E44: DBFEB500 B4000007
	v_mfma_f32_16x16x16_bf16 v[44:47], a[146:147], v[32:33], v[44:47]// 000000003E4C: D3E1002C 0CB24192
	v_mfma_f32_16x16x16_bf16 v[48:51], a[148:149], v[32:33], v[48:51]// 000000003E54: D3E10030 0CC24194
	v_mfma_f32_16x16x16_bf16 v[52:55], a[150:151], v[32:33], v[52:55]// 000000003E5C: D3E10034 0CD24196
	v_mfma_f32_16x16x16_bf16 v[56:59], a[152:153], v[32:33], v[56:59]// 000000003E64: D3E10038 0CE24198
	ds_read_b128 a[184:187], v7 offset:47360                   // 000000003E6C: DBFEB900 B8000007
	ds_read_b128 a[188:191], v7 offset:48384                   // 000000003E74: DBFEBD00 BC000007
	v_mfma_f32_16x16x16_bf16 v[60:63], a[154:155], v[32:33], v[60:63]// 000000003E7C: D3E1003C 0CF2419A
	v_mfma_f32_16x16x16_bf16 v[64:67], a[156:157], v[32:33], v[64:67]// 000000003E84: D3E10040 0D02419C
	v_mfma_f32_16x16x16_bf16 v[68:71], a[158:159], v[32:33], v[68:71]// 000000003E8C: D3E10044 0D12419E
	v_mfma_f32_16x16x16_bf16 v[72:75], a[160:161], v[32:33], v[72:75]// 000000003E94: D3E10048 0D2241A0
	ds_read_b128 a[192:195], v7 offset:49408                   // 000000003E9C: DBFEC100 C0000007
	ds_read_b128 a[196:199], v7 offset:50432                   // 000000003EA4: DBFEC500 C4000007
	v_mfma_f32_16x16x16_bf16 v[76:79], a[162:163], v[32:33], v[76:79]// 000000003EAC: D3E1004C 0D3241A2
	v_mfma_f32_16x16x16_bf16 v[80:83], a[164:165], v[32:33], v[80:83]// 000000003EB4: D3E10050 0D4241A4
	v_mfma_f32_16x16x16_bf16 v[84:87], a[166:167], v[32:33], v[84:87]// 000000003EBC: D3E10054 0D5241A6
	v_mfma_f32_16x16x16_bf16 v[88:91], a[168:169], v[32:33], v[88:91]// 000000003EC4: D3E10058 0D6241A8
	ds_read_b128 a[200:203], v7 offset:51456                   // 000000003ECC: DBFEC900 C8000007
	ds_read_b128 a[204:207], v7 offset:52480                   // 000000003ED4: DBFECD00 CC000007
	v_mfma_f32_16x16x16_bf16 v[92:95], a[170:171], v[32:33], v[92:95]// 000000003EDC: D3E1005C 0D7241AA
	v_mfma_f32_16x16x16_bf16 v[96:99], a[172:173], v[32:33], v[96:99]// 000000003EE4: D3E10060 0D8241AC
	v_mfma_f32_16x16x16_bf16 v[100:103], a[174:175], v[32:33], v[100:103]// 000000003EEC: D3E10064 0D9241AE
	s_waitcnt lgkmcnt(4)                                       // 000000003EF4: BF8CC47F
	v_mfma_f32_16x16x16_bf16 v[104:107], a[176:177], v[32:33], v[104:107]// 000000003EF8: D3E10068 0DA241B0
	v_mfma_f32_16x16x16_bf16 v[108:111], a[178:179], v[32:33], v[108:111]// 000000003F00: D3E1006C 0DB241B2
	v_mfma_f32_16x16x16_bf16 v[112:115], a[180:181], v[32:33], v[112:115]// 000000003F08: D3E10070 0DC241B4
	s_waitcnt vmcnt(18) lgkmcnt(0)                             // 000000003F10: BF8C4072
	s_barrier                                                  // 000000003F14: BF8A0000
	v_mfma_f32_16x16x16_bf16 v[116:119], a[182:183], v[32:33], v[116:119]// 000000003F18: D3E10074 0DD241B6
	ds_read_b64 v[20:21], v5 offset:18560                      // 000000003F20: D8EC4880 14000005
	ds_read_b64 v[22:23], v5 offset:23200                      // 000000003F28: D8EC5AA0 16000005
	v_mfma_f32_16x16x16_bf16 v[120:123], a[184:185], v[32:33], v[120:123]// 000000003F30: D3E10078 0DE241B8
	ds_read_b64 v[24:25], v5 offset:27840                      // 000000003F38: D8EC6CC0 18000005
	ds_read_b64 v[26:27], v5 offset:32480                      // 000000003F40: D8EC7EE0 1A000005
	v_mfma_f32_16x16x16_bf16 v[124:127], a[186:187], v[32:33], v[124:127]// 000000003F48: D3E1007C 0DF241BA
	ds_read_b128 a[144:147], v4 offset:18560                   // 000000003F50: DBFE4880 90000004
	v_mfma_f32_16x16x16_bf16 v[128:131], a[188:189], v[32:33], v[128:131]// 000000003F58: D3E10080 0E0241BC
	ds_read_b128 a[148:151], v4 offset:18624                   // 000000003F60: DBFE48C0 94000004
	v_mfma_f32_16x16x16_bf16 v[132:135], a[190:191], v[32:33], v[132:135]// 000000003F68: D3E10084 0E1241BE
	ds_read_b128 a[152:155], v4 offset:18816                   // 000000003F70: DBFE4980 98000004
	v_mfma_f32_16x16x16_bf16 v[136:139], a[192:193], v[32:33], v[136:139]// 000000003F78: D3E10088 0E2241C0
	ds_read_b128 a[156:159], v4 offset:18880                   // 000000003F80: DBFE49C0 9C000004
	v_mfma_f32_16x16x16_bf16 v[140:143], a[194:195], v[32:33], v[140:143]// 000000003F88: D3E1008C 0E3241C2
	ds_read_b128 a[160:163], v4 offset:19072                   // 000000003F90: DBFE4A80 A0000004
	v_mfma_f32_16x16x16_bf16 v[144:147], a[196:197], v[32:33], v[144:147]// 000000003F98: D3E10090 0E4241C4
	ds_read_b128 a[164:167], v4 offset:19136                   // 000000003FA0: DBFE4AC0 A4000004
	v_mfma_f32_16x16x16_bf16 v[148:151], a[198:199], v[32:33], v[148:151]// 000000003FA8: D3E10094 0E5241C6
	ds_read_b128 a[168:171], v4 offset:19328                   // 000000003FB0: DBFE4B80 A8000004
	v_mfma_f32_16x16x16_bf16 v[152:155], a[200:201], v[32:33], v[152:155]// 000000003FB8: D3E10098 0E6241C8
	ds_read_b128 a[172:175], v4 offset:19392                   // 000000003FC0: DBFE4BC0 AC000004
	v_mfma_f32_16x16x16_bf16 v[156:159], a[202:203], v[32:33], v[156:159]// 000000003FC8: D3E1009C 0E7241CA
	s_waitcnt lgkmcnt(8)                                       // 000000003FD0: BF8CC87F
	v_perm_b32 v168, v22, v20, s53                             // 000000003FD4: D1ED00A8 00D62916
	v_perm_b32 v170, v22, v20, s52                             // 000000003FDC: D1ED00AA 00D22916
	v_perm_b32 v169, v26, v24, s53                             // 000000003FE4: D1ED00A9 00D6311A
	v_perm_b32 v171, v26, v24, s52                             // 000000003FEC: D1ED00AB 00D2311A
	v_mfma_f32_16x16x16_bf16 v[160:163], a[204:205], v[32:33], v[160:163]// 000000003FF4: D3E100A0 0E8241CC
	ds_write_b128 v6, v[168:171] offset:37120                  // 000000003FFC: D9BE9100 0000A806
	v_perm_b32 v168, v23, v21, s53                             // 000000004004: D1ED00A8 00D62B17
	v_perm_b32 v170, v23, v21, s52                             // 00000000400C: D1ED00AA 00D22B17
	v_perm_b32 v169, v27, v25, s53                             // 000000004014: D1ED00A9 00D6331B
	v_perm_b32 v171, v27, v25, s52                             // 00000000401C: D1ED00AB 00D2331B
	v_mfma_f32_16x16x16_bf16 v[164:167], a[206:207], v[32:33], v[164:167]// 000000004024: D3E100A4 0E9241CE
	ds_write_b128 v6, v[168:171] offset:38144                  // 00000000402C: D9BE9500 0000A806
	ds_read_b64 v[20:21], v5 offset:19584                      // 000000004034: D8EC4C80 14000005
	ds_read_b64 v[22:23], v5 offset:24224                      // 00000000403C: D8EC5EA0 16000005
	ds_read_b64 v[24:25], v5 offset:28864                      // 000000004044: D8EC70C0 18000005
	ds_read_b64 v[26:27], v5 offset:33504                      // 00000000404C: D8EC82E0 1A000005
	s_nop 0                                                    // 000000004054: BF800000
	s_addk_i32 s70, 0x1                                        // 000000004058: B7460001
	s_cmp_lt_i32 s70, s71                                      // 00000000405C: BF044746
	s_cbranch_scc0 label_24F8                                  // 000000004060: BF840265
	s_waitcnt lgkmcnt(4)                                       // 000000004064: BF8CC47F
	v_mfma_f32_16x16x16_bf16 v[32:35], a[144:145], a[0:1], 0   // 000000004068: D3E10020 1A020190
	ds_read_b128 a[176:179], v4 offset:19584                   // 000000004070: DBFE4C80 B0000004
	ds_read_b128 a[180:183], v4 offset:19648                   // 000000004078: DBFE4CC0 B4000004
	v_mfma_f32_16x16x16_bf16 v[32:35], a[146:147], a[2:3], v[32:35]// 000000004080: D3E10020 1C820592
	buffer_load_dword v11, v8, s[24:27], 0 offen               // 000000004088: E0501000 80060B08
	v_mfma_f32_16x16x16_bf16 v[32:35], a[148:149], a[4:5], v[32:35]// 000000004090: D3E10020 1C820994
	v_mfma_f32_16x16x16_bf16 v[32:35], a[150:151], a[6:7], v[32:35]// 000000004098: D3E10020 1C820D96
	v_mfma_f32_16x16x16_bf16 v[32:35], a[152:153], a[8:9], v[32:35]// 0000000040A0: D3E10020 1C821198
	ds_read_b128 a[184:187], v4 offset:19840                   // 0000000040A8: DBFE4D80 B8000004
	ds_read_b128 a[188:191], v4 offset:19904                   // 0000000040B0: DBFE4DC0 BC000004
	v_mfma_f32_16x16x16_bf16 v[32:35], a[154:155], a[10:11], v[32:35]// 0000000040B8: D3E10020 1C82159A
	v_mfma_f32_16x16x16_bf16 v[32:35], a[156:157], a[12:13], v[32:35]// 0000000040C0: D3E10020 1C82199C
	v_mfma_f32_16x16x16_bf16 v[32:35], a[158:159], a[14:15], v[32:35]// 0000000040C8: D3E10020 1C821D9E
	s_waitcnt lgkmcnt(4)                                       // 0000000040D0: BF8CC47F
	v_mfma_f32_16x16x16_bf16 v[32:35], a[160:161], a[16:17], v[32:35]// 0000000040D4: D3E10020 1C8221A0
	ds_read_b128 a[192:195], v4 offset:20096                   // 0000000040DC: DBFE4E80 C0000004
	ds_read_b128 a[196:199], v4 offset:20160                   // 0000000040E4: DBFE4EC0 C4000004
	v_mfma_f32_16x16x16_bf16 v[32:35], a[162:163], a[18:19], v[32:35]// 0000000040EC: D3E10020 1C8225A2
	v_mfma_f32_16x16x16_bf16 v[32:35], a[164:165], a[20:21], v[32:35]// 0000000040F4: D3E10020 1C8229A4
	v_mfma_f32_16x16x16_bf16 v[32:35], a[166:167], a[22:23], v[32:35]// 0000000040FC: D3E10020 1C822DA6
	v_mfma_f32_16x16x16_bf16 v[32:35], a[168:169], a[24:25], v[32:35]// 000000004104: D3E10020 1C8231A8
	ds_read_b128 a[200:203], v4 offset:20352                   // 00000000410C: DBFE4F80 C8000004
	ds_read_b128 a[204:207], v4 offset:20416                   // 000000004114: DBFE4FC0 CC000004
	v_mfma_f32_16x16x16_bf16 v[32:35], a[170:171], a[26:27], v[32:35]// 00000000411C: D3E10020 1C8235AA
	v_mfma_f32_16x16x16_bf16 v[32:35], a[172:173], a[28:29], v[32:35]// 000000004124: D3E10020 1C8239AC
	v_mfma_f32_16x16x16_bf16 v[32:35], a[174:175], a[30:31], v[32:35]// 00000000412C: D3E10020 1C823DAE
	s_waitcnt lgkmcnt(4)                                       // 000000004134: BF8CC47F
	s_barrier                                                  // 000000004138: BF8A0000
	v_mfma_f32_16x16x16_bf16 v[32:35], a[176:177], a[32:33], v[32:35]// 00000000413C: D3E10020 1C8241B0
	ds_read_b128 a[208:211], v4 offset:20608                   // 000000004144: DBFE5080 D0000004
	ds_read_b128 a[212:215], v4 offset:20672                   // 00000000414C: DBFE50C0 D4000004
	v_mfma_f32_16x16x16_bf16 v[32:35], a[178:179], a[34:35], v[32:35]// 000000004154: D3E10020 1C8245B2
	v_mfma_f32_16x16x16_bf16 v[32:35], a[180:181], a[36:37], v[32:35]// 00000000415C: D3E10020 1C8249B4
	v_perm_b32 v168, v22, v20, s53                             // 000000004164: D1ED00A8 00D62916
	v_perm_b32 v170, v22, v20, s52                             // 00000000416C: D1ED00AA 00D22916
	v_perm_b32 v169, v26, v24, s53                             // 000000004174: D1ED00A9 00D6311A
	v_perm_b32 v171, v26, v24, s52                             // 00000000417C: D1ED00AB 00D2311A
	v_mfma_f32_16x16x16_bf16 v[32:35], a[182:183], a[38:39], v[32:35]// 000000004184: D3E10020 1C824DB6
	buffer_load_dword v18, s[20:23], 0 offen lds               // 00000000418C: E0511000 80050012
	s_add_u32 m0, 0, s37                                       // 000000004194: 807C2580
	v_mfma_f32_16x16x16_bf16 v[32:35], a[184:185], a[40:41], v[32:35]// 000000004198: D3E10020 1C8251B8
	ds_write_b128 v6, v[168:171] offset:45312                  // 0000000041A0: D9BEB100 0000A806
	v_mfma_f32_16x16x16_bf16 v[32:35], a[186:187], a[42:43], v[32:35]// 0000000041A8: D3E10020 1C8255BA
	buffer_load_dword v19, s[20:23], 0 offen lds               // 0000000041B0: E0511000 80050013
	s_add_u32 m0, 0x80, s36                                    // 0000000041B8: 807C24FF 00000080
	v_mfma_f32_16x16x16_bf16 v[32:35], a[188:189], a[44:45], v[32:35]// 0000000041C0: D3E10020 1C8259BC
	v_perm_b32 v168, v23, v21, s53                             // 0000000041C8: D1ED00A8 00D62B17
	v_perm_b32 v170, v23, v21, s52                             // 0000000041D0: D1ED00AA 00D22B17
	v_perm_b32 v169, v27, v25, s53                             // 0000000041D8: D1ED00A9 00D6331B
	v_perm_b32 v171, v27, v25, s52                             // 0000000041E0: D1ED00AB 00D2331B
	v_mfma_f32_16x16x16_bf16 v[32:35], a[190:191], a[46:47], v[32:35]// 0000000041E8: D3E10020 1C825DBE
	buffer_load_dword v18, s[20:23], 0 offen offset:128 lds    // 0000000041F0: E0511080 80050012
	s_add_u32 m0, 0x80, s37                                    // 0000000041F8: 807C25FF 00000080
	s_waitcnt lgkmcnt(1)                                       // 000000004200: BF8CC17F
	v_mfma_f32_16x16x16_bf16 v[32:35], a[192:193], a[48:49], v[32:35]// 000000004204: D3E10020 1C8261C0
	ds_write_b128 v6, v[168:171] offset:46336                  // 00000000420C: D9BEB500 0000A806
	v_mfma_f32_16x16x16_bf16 v[32:35], a[194:195], a[50:51], v[32:35]// 000000004214: D3E10020 1C8265C2
	buffer_load_dword v19, s[20:23], 0 offen offset:128 lds    // 00000000421C: E0511080 80050013
	s_add_u32 m0, 0x100, s36                                   // 000000004224: 807C24FF 00000100
	v_mfma_f32_16x16x16_bf16 v[32:35], a[196:197], a[52:53], v[32:35]// 00000000422C: D3E10020 1C8269C4
	v_mfma_f32_16x16x16_bf16 v[32:35], a[198:199], a[54:55], v[32:35]// 000000004234: D3E10020 1C826DC6
	buffer_load_dword v18, s[20:23], 0 offen offset:256 lds    // 00000000423C: E0511100 80050012
	s_add_u32 m0, 0x100, s37                                   // 000000004244: 807C25FF 00000100
	v_mfma_f32_16x16x16_bf16 v[32:35], a[200:201], a[56:57], v[32:35]// 00000000424C: D3E10020 1C8271C8
	v_mfma_f32_16x16x16_bf16 v[32:35], a[202:203], a[58:59], v[32:35]// 000000004254: D3E10020 1C8275CA
	buffer_load_dword v19, s[20:23], 0 offen offset:256 lds    // 00000000425C: E0511100 80050013
	s_add_u32 m0, 0x180, s36                                   // 000000004264: 807C24FF 00000180
	v_mfma_f32_16x16x16_bf16 v[32:35], a[204:205], a[60:61], v[32:35]// 00000000426C: D3E10020 1C8279CC
	v_mfma_f32_16x16x16_bf16 v[32:35], a[206:207], a[62:63], v[32:35]// 000000004274: D3E10020 1C827DCE
	buffer_load_dword v18, s[20:23], 0 offen offset:384 lds    // 00000000427C: E0511180 80050012
	s_add_u32 m0, 0x180, s37                                   // 000000004284: 807C25FF 00000180
	v_mfma_f32_16x16x16_bf16 v[32:35], a[208:209], a[64:65], v[32:35]// 00000000428C: D3E10020 1C8281D0
	v_mfma_f32_16x16x16_bf16 v[32:35], a[210:211], a[66:67], v[32:35]// 000000004294: D3E10020 1C8285D2
	buffer_load_dword v19, s[20:23], 0 offen offset:384 lds    // 00000000429C: E0511180 80050013
	s_add_u32 m0, 0x200, s36                                   // 0000000042A4: 807C24FF 00000200
	v_mfma_f32_16x16x16_bf16 v[32:35], a[212:213], a[68:69], v[32:35]// 0000000042AC: D3E10020 1C8289D4
	v_mfma_f32_16x16x16_bf16 v[32:35], a[214:215], a[70:71], v[32:35]// 0000000042B4: D3E10020 1C828DD6
	buffer_load_dword v18, s[20:23], 0 offen offset:512 lds    // 0000000042BC: E0511200 80050012
	s_add_u32 m0, 0x200, s37                                   // 0000000042C4: 807C25FF 00000200
	v_add_u32_e32 v8, s73, v8                                  // 0000000042CC: 68101049
	s_cmp_le_i32 s83, s82                                      // 0000000042D0: BF055253
	s_cbranch_scc1 label_1E68                                  // 0000000042D4: BF850024
	v_mov_b32_e32 v25, 0xff800000                              // 0000000042D8: 7E3202FF FF800000
	s_add_u32 s57, s82, 0                                      // 0000000042E0: 80398052
	v_mov_b32_e32 v24, s57                                     // 0000000042E4: 7E300239
	v_add_u32_e32 v24, s7, v24                                 // 0000000042E8: 68303007
	s_sub_u32 s56, s83, 15                                     // 0000000042EC: 80B88F53
	v_lshrrev_b32_e32 v20, 4, v0                               // 0000000042F0: 20280084
	v_mul_i32_i24_e32 v20, 4, v20                              // 0000000042F4: 0C282884
	v_add_u32_e32 v20, s56, v20                                // 0000000042F8: 68282838
	v_add_u32_e32 v21, 1, v20                                  // 0000000042FC: 682A2881
	v_add_u32_e32 v22, 2, v20                                  // 000000004300: 682C2882
	v_add_u32_e32 v23, 3, v20                                  // 000000004304: 682E2883
	v_cmp_le_u32_e64 s[38:39], v20, v24                        // 000000004308: D0CB0026 00023114
	v_add_u32_e32 v20, 64, v20                                 // 000000004310: 682828C0
	s_nop 0                                                    // 000000004314: BF800000
	v_cndmask_b32_e64 v32, v25, v32, s[38:39]                  // 000000004318: D1000020 009A4119
	v_cmp_le_u32_e64 s[38:39], v21, v24                        // 000000004320: D0CB0026 00023115
	v_add_u32_e32 v21, 64, v21                                 // 000000004328: 682A2AC0
	s_nop 0                                                    // 00000000432C: BF800000
	v_cndmask_b32_e64 v33, v25, v33, s[38:39]                  // 000000004330: D1000021 009A4319
	v_cmp_le_u32_e64 s[38:39], v22, v24                        // 000000004338: D0CB0026 00023116
	v_add_u32_e32 v22, 64, v22                                 // 000000004340: 682C2CC0
	s_nop 0                                                    // 000000004344: BF800000
	v_cndmask_b32_e64 v34, v25, v34, s[38:39]                  // 000000004348: D1000022 009A4519
	v_cmp_le_u32_e64 s[38:39], v23, v24                        // 000000004350: D0CB0026 00023117
	v_add_u32_e32 v23, 64, v23                                 // 000000004358: 682E2EC0
	s_nop 0                                                    // 00000000435C: BF800000
	v_cndmask_b32_e64 v35, v25, v35, s[38:39]                  // 000000004360: D1000023 009A4719

0000000000004368 <label_1E68>:
	s_waitcnt lgkmcnt(0)                                       // 000000004368: BF8CC07F
	s_barrier                                                  // 00000000436C: BF8A0000
	v_max3_f32 v24, v32, v33, v32                              // 000000004370: D1D30018 04824320
	v_max3_f32 v24, v34, v35, v24                              // 000000004378: D1D30018 04624722
	ds_write_b32 v3, v24 offset:53504                          // 000000004380: D81AD100 00001803
	buffer_load_dword v19, s[20:23], 0 offen offset:512 lds    // 000000004388: E0511200 80050013
	s_add_u32 m0, 0x280, s36                                   // 000000004390: 807C24FF 00000280
	buffer_load_dword v18, s[20:23], 0 offen offset:640 lds    // 000000004398: E0511280 80050012
	s_add_u32 m0, 0x280, s37                                   // 0000000043A0: 807C25FF 00000280
	s_waitcnt lgkmcnt(0)                                       // 0000000043A8: BF8CC07F
	ds_read_b32 v20, v2 offset:53504                           // 0000000043AC: D86CD100 14000002
	ds_read_b32 v21, v2 offset:53568                           // 0000000043B4: D86CD140 15000002
	ds_read_b32 v22, v2 offset:53632                           // 0000000043BC: D86CD180 16000002
	ds_read_b32 v23, v2 offset:53696                           // 0000000043C4: D86CD1C0 17000002
	buffer_load_dword v19, s[20:23], 0 offen offset:640 lds    // 0000000043CC: E0511280 80050013
	s_add_u32 m0, 0x300, s36                                   // 0000000043D4: 807C24FF 00000300
	buffer_load_dword v18, s[20:23], 0 offen offset:768 lds    // 0000000043DC: E0511300 80050012
	s_add_u32 m0, 0x300, s37                                   // 0000000043E4: 807C25FF 00000300
	buffer_load_dword v19, s[20:23], 0 offen offset:768 lds    // 0000000043EC: E0511300 80050013
	s_add_u32 m0, 0x380, s36                                   // 0000000043F4: 807C24FF 00000380
	s_waitcnt lgkmcnt(0)                                       // 0000000043FC: BF8CC07F
	v_max3_f32 v24, v20, v21, v24                              // 000000004400: D1D30018 04622B14
	v_max3_f32 v24, v22, v23, v24                              // 000000004408: D1D30018 04622F16
	buffer_load_dword v18, s[20:23], 0 offen offset:896 lds    // 000000004410: E0511380 80050012
	s_add_u32 m0, 0x380, s37                                   // 000000004418: 807C25FF 00000380
	buffer_load_dword v19, s[20:23], 0 offen offset:896 lds    // 000000004420: E0511380 80050013
	s_add_u32 m0, 0x400, s36                                   // 000000004428: 807C24FF 00000400
	ds_read_b128 a[144:147], v7 offset:37120                   // 000000004430: DBFE9100 90000007
	ds_read_b128 a[148:151], v7 offset:38144                   // 000000004438: DBFE9500 94000007
	buffer_load_dword v18, s[20:23], 0 offen offset:1024 lds   // 000000004440: E0511400 80050012
	s_add_u32 m0, 0x400, s37                                   // 000000004448: 807C25FF 00000400
	ds_read_b128 a[152:155], v7 offset:39168                   // 000000004450: DBFE9900 98000007
	ds_read_b128 a[156:159], v7 offset:40192                   // 000000004458: DBFE9D00 9C000007
	buffer_load_dword v19, s[20:23], 0 offen offset:1024 lds   // 000000004460: E0511400 80050013
	s_add_u32 m0, 0x480, s36                                   // 000000004468: 807C24FF 00000480
	ds_read_b128 a[160:163], v7 offset:41216                   // 000000004470: DBFEA100 A0000007
	ds_read_b128 a[164:167], v7 offset:42240                   // 000000004478: DBFEA500 A4000007
	ds_read_b128 a[168:171], v7 offset:43264                   // 000000004480: DBFEA900 A8000007
	ds_read_b128 a[172:175], v7 offset:44288                   // 000000004488: DBFEAD00 AC000007
	v_mov_b32_e32 v25, 0xff7fffff                              // 000000004490: 7E3202FF FF7FFFFF
	v_cmp_eq_u32_e64 s[38:39], v25, v12                        // 000000004498: D0CA0026 00021919
	v_max_f32_e32 v20, v24, v12                                // 0000000044A0: 16281918
	v_sub_f32_e32 v16, v12, v20                                // 0000000044A4: 0420290C
	v_cndmask_b32_e64 v16, v16, 0, s[38:39]                    // 0000000044A8: D1000010 00990110
	v_mov_b32_e32 v12, v20                                     // 0000000044B0: 7E180314
	v_mul_f32_e32 v21, s5, v20                                 // 0000000044B4: 0A2A2805
	v_mul_f32_e32 v16, s5, v16                                 // 0000000044B8: 0A202005
	v_exp_f32_e32 v16, v16                                     // 0000000044BC: 7E204110
	v_fma_f32 v32, v32, s5, -v21                               // 0000000044C0: D1CB0020 84540B20
	v_fma_f32 v33, v33, s5, -v21                               // 0000000044C8: D1CB0021 84540B21
	v_fma_f32 v34, v34, s5, -v21                               // 0000000044D0: D1CB0022 84540B22
	v_fma_f32 v35, v35, s5, -v21                               // 0000000044D8: D1CB0023 84540B23
	v_exp_f32_e32 v32, v32                                     // 0000000044E0: 7E404120
	v_exp_f32_e32 v33, v33                                     // 0000000044E4: 7E424121
	v_exp_f32_e32 v34, v34                                     // 0000000044E8: 7E444122
	v_exp_f32_e32 v35, v35                                     // 0000000044EC: 7E464123
	v_mul_f32_e32 v14, v16, v14                                // 0000000044F0: 0A1C1D10
	v_mov_b32_e32 v22, v32                                     // 0000000044F4: 7E2C0320
	v_add_f32_e32 v22, v33, v22                                // 0000000044F8: 022C2D21
	v_add_f32_e32 v22, v34, v22                                // 0000000044FC: 022C2D22
	v_add_f32_e32 v22, v35, v22                                // 000000004500: 022C2D23
	v_add_f32_e32 v14, v22, v14                                // 000000004504: 021C1D16
	v_mov_b32_e32 v29, 0xffff0000                              // 000000004508: 7E3A02FF FFFF0000
	v_mov_b32_e32 v30, 0x7fff0000                              // 000000004510: 7E3C02FF 7FFF0000
	v_mov_b32_e32 v31, 0x7fff                                  // 000000004518: 7E3E02FF 00007FFF
	v_cmp_u_f32_e64 s[38:39], v32, v32                         // 000000004520: D0480026 00024120
	v_add3_u32 v28, v32, v31, 1                                // 000000004528: D1FF001C 02063F20
	v_cndmask_b32_e64 v20, v28, v30, s[38:39]                  // 000000004530: D1000014 009A3D1C
	v_cmp_u_f32_e64 s[38:39], v33, v33                         // 000000004538: D0480026 00024321
	v_add3_u32 v28, v33, v31, 1                                // 000000004540: D1FF001C 02063F21
	v_cndmask_b32_e64 v21, v28, v30, s[38:39]                  // 000000004548: D1000015 009A3D1C
	v_perm_b32 v32, v21, v20, s52                              // 000000004550: D1ED0020 00D22915
	v_cmp_u_f32_e64 s[38:39], v34, v34                         // 000000004558: D0480026 00024522
	v_add3_u32 v28, v34, v31, 1                                // 000000004560: D1FF001C 02063F22
	v_cndmask_b32_e64 v20, v28, v30, s[38:39]                  // 000000004568: D1000014 009A3D1C
	v_cmp_u_f32_e64 s[38:39], v35, v35                         // 000000004570: D0480026 00024723
	v_add3_u32 v28, v35, v31, 1                                // 000000004578: D1FF001C 02063F23
	v_cndmask_b32_e64 v21, v28, v30, s[38:39]                  // 000000004580: D1000015 009A3D1C
	v_perm_b32 v33, v21, v20, s52                              // 000000004588: D1ED0021 00D22915
	s_nop 2                                                    // 000000004590: BF800002
	s_add_u32 s83, s84, s83                                    // 000000004594: 80535354
	s_nop 0                                                    // 000000004598: BF800000
	v_mul_u32_u24_dpp v18, v10, v9 row_newbcast:0 row_mask:0xf bank_mask:0xf// 00000000459C: 102412FA FF01500A
	v_mul_u32_u24_dpp v19, v10, v9 row_newbcast:8 row_mask:0xf bank_mask:0xf// 0000000045A4: 102612FA FF01580A
	v_add_u32_e32 v18, v18, v1                                 // 0000000045AC: 68240312
	v_add_u32_e32 v19, v19, v1                                 // 0000000045B0: 68260313
	s_mov_b32 m0, s34                                          // 0000000045B4: BEFC0022
	v_mov_b32_e32 v22, v16                                     // 0000000045B8: 7E2C0310
	v_mov_b32_e32 v23, v16                                     // 0000000045BC: 7E2E0310
	v_pk_mul_f32 v[40:41], v[22:23], v[40:41]                  // 0000000045C0: D3B14028 18025116
	v_pk_mul_f32 v[42:43], v[22:23], v[42:43]                  // 0000000045C8: D3B1402A 18025516
	v_pk_mul_f32 v[44:45], v[22:23], v[44:45]                  // 0000000045D0: D3B1402C 18025916
	v_pk_mul_f32 v[46:47], v[22:23], v[46:47]                  // 0000000045D8: D3B1402E 18025D16
	v_pk_mul_f32 v[48:49], v[22:23], v[48:49]                  // 0000000045E0: D3B14030 18026116
	v_pk_mul_f32 v[50:51], v[22:23], v[50:51]                  // 0000000045E8: D3B14032 18026516
	v_pk_mul_f32 v[52:53], v[22:23], v[52:53]                  // 0000000045F0: D3B14034 18026916
	v_pk_mul_f32 v[54:55], v[22:23], v[54:55]                  // 0000000045F8: D3B14036 18026D16
	v_pk_mul_f32 v[56:57], v[22:23], v[56:57]                  // 000000004600: D3B14038 18027116
	v_pk_mul_f32 v[58:59], v[22:23], v[58:59]                  // 000000004608: D3B1403A 18027516
	v_pk_mul_f32 v[60:61], v[22:23], v[60:61]                  // 000000004610: D3B1403C 18027916
	v_pk_mul_f32 v[62:63], v[22:23], v[62:63]                  // 000000004618: D3B1403E 18027D16
	v_pk_mul_f32 v[64:65], v[22:23], v[64:65]                  // 000000004620: D3B14040 18028116
	v_pk_mul_f32 v[66:67], v[22:23], v[66:67]                  // 000000004628: D3B14042 18028516
	v_pk_mul_f32 v[68:69], v[22:23], v[68:69]                  // 000000004630: D3B14044 18028916
	v_pk_mul_f32 v[70:71], v[22:23], v[70:71]                  // 000000004638: D3B14046 18028D16
	v_pk_mul_f32 v[72:73], v[22:23], v[72:73]                  // 000000004640: D3B14048 18029116
	v_pk_mul_f32 v[74:75], v[22:23], v[74:75]                  // 000000004648: D3B1404A 18029516
	v_pk_mul_f32 v[76:77], v[22:23], v[76:77]                  // 000000004650: D3B1404C 18029916
	v_pk_mul_f32 v[78:79], v[22:23], v[78:79]                  // 000000004658: D3B1404E 18029D16
	v_pk_mul_f32 v[80:81], v[22:23], v[80:81]                  // 000000004660: D3B14050 1802A116
	v_pk_mul_f32 v[82:83], v[22:23], v[82:83]                  // 000000004668: D3B14052 1802A516
	v_pk_mul_f32 v[84:85], v[22:23], v[84:85]                  // 000000004670: D3B14054 1802A916
	v_pk_mul_f32 v[86:87], v[22:23], v[86:87]                  // 000000004678: D3B14056 1802AD16
	v_pk_mul_f32 v[88:89], v[22:23], v[88:89]                  // 000000004680: D3B14058 1802B116
	v_pk_mul_f32 v[90:91], v[22:23], v[90:91]                  // 000000004688: D3B1405A 1802B516
	v_pk_mul_f32 v[92:93], v[22:23], v[92:93]                  // 000000004690: D3B1405C 1802B916
	v_pk_mul_f32 v[94:95], v[22:23], v[94:95]                  // 000000004698: D3B1405E 1802BD16
	v_pk_mul_f32 v[96:97], v[22:23], v[96:97]                  // 0000000046A0: D3B14060 1802C116
	v_pk_mul_f32 v[98:99], v[22:23], v[98:99]                  // 0000000046A8: D3B14062 1802C516
	v_pk_mul_f32 v[100:101], v[22:23], v[100:101]              // 0000000046B0: D3B14064 1802C916
	v_pk_mul_f32 v[102:103], v[22:23], v[102:103]              // 0000000046B8: D3B14066 1802CD16
	v_pk_mul_f32 v[104:105], v[22:23], v[104:105]              // 0000000046C0: D3B14068 1802D116
	v_pk_mul_f32 v[106:107], v[22:23], v[106:107]              // 0000000046C8: D3B1406A 1802D516
	v_pk_mul_f32 v[108:109], v[22:23], v[108:109]              // 0000000046D0: D3B1406C 1802D916
	v_pk_mul_f32 v[110:111], v[22:23], v[110:111]              // 0000000046D8: D3B1406E 1802DD16
	v_pk_mul_f32 v[112:113], v[22:23], v[112:113]              // 0000000046E0: D3B14070 1802E116
	v_pk_mul_f32 v[114:115], v[22:23], v[114:115]              // 0000000046E8: D3B14072 1802E516
	v_pk_mul_f32 v[116:117], v[22:23], v[116:117]              // 0000000046F0: D3B14074 1802E916
	v_pk_mul_f32 v[118:119], v[22:23], v[118:119]              // 0000000046F8: D3B14076 1802ED16
	v_pk_mul_f32 v[120:121], v[22:23], v[120:121]              // 000000004700: D3B14078 1802F116
	v_pk_mul_f32 v[122:123], v[22:23], v[122:123]              // 000000004708: D3B1407A 1802F516
	v_pk_mul_f32 v[124:125], v[22:23], v[124:125]              // 000000004710: D3B1407C 1802F916
	v_pk_mul_f32 v[126:127], v[22:23], v[126:127]              // 000000004718: D3B1407E 1802FD16
	v_pk_mul_f32 v[128:129], v[22:23], v[128:129]              // 000000004720: D3B14080 18030116
	v_pk_mul_f32 v[130:131], v[22:23], v[130:131]              // 000000004728: D3B14082 18030516
	v_pk_mul_f32 v[132:133], v[22:23], v[132:133]              // 000000004730: D3B14084 18030916
	v_pk_mul_f32 v[134:135], v[22:23], v[134:135]              // 000000004738: D3B14086 18030D16
	v_pk_mul_f32 v[136:137], v[22:23], v[136:137]              // 000000004740: D3B14088 18031116
	v_pk_mul_f32 v[138:139], v[22:23], v[138:139]              // 000000004748: D3B1408A 18031516
	v_pk_mul_f32 v[140:141], v[22:23], v[140:141]              // 000000004750: D3B1408C 18031916
	v_pk_mul_f32 v[142:143], v[22:23], v[142:143]              // 000000004758: D3B1408E 18031D16
	v_pk_mul_f32 v[144:145], v[22:23], v[144:145]              // 000000004760: D3B14090 18032116
	v_pk_mul_f32 v[146:147], v[22:23], v[146:147]              // 000000004768: D3B14092 18032516
	v_pk_mul_f32 v[148:149], v[22:23], v[148:149]              // 000000004770: D3B14094 18032916
	v_pk_mul_f32 v[150:151], v[22:23], v[150:151]              // 000000004778: D3B14096 18032D16
	v_pk_mul_f32 v[152:153], v[22:23], v[152:153]              // 000000004780: D3B14098 18033116
	v_pk_mul_f32 v[154:155], v[22:23], v[154:155]              // 000000004788: D3B1409A 18033516
	v_pk_mul_f32 v[156:157], v[22:23], v[156:157]              // 000000004790: D3B1409C 18033916
	v_pk_mul_f32 v[158:159], v[22:23], v[158:159]              // 000000004798: D3B1409E 18033D16
	v_pk_mul_f32 v[160:161], v[22:23], v[160:161]              // 0000000047A0: D3B140A0 18034116
	v_pk_mul_f32 v[162:163], v[22:23], v[162:163]              // 0000000047A8: D3B140A2 18034516
	v_pk_mul_f32 v[164:165], v[22:23], v[164:165]              // 0000000047B0: D3B140A4 18034916
	v_pk_mul_f32 v[166:167], v[22:23], v[166:167]              // 0000000047B8: D3B140A6 18034D16
	s_waitcnt lgkmcnt(0)                                       // 0000000047C0: BF8CC07F
	v_mfma_f32_16x16x16_bf16 v[40:43], a[144:145], v[32:33], v[40:43]// 0000000047C4: D3E10028 0CA24190
	ds_read_b128 a[176:179], v7 offset:45312                   // 0000000047CC: DBFEB100 B0000007
	ds_read_b128 a[180:183], v7 offset:46336                   // 0000000047D4: DBFEB500 B4000007
	v_mfma_f32_16x16x16_bf16 v[44:47], a[146:147], v[32:33], v[44:47]// 0000000047DC: D3E1002C 0CB24192
	v_mfma_f32_16x16x16_bf16 v[48:51], a[148:149], v[32:33], v[48:51]// 0000000047E4: D3E10030 0CC24194
	v_mfma_f32_16x16x16_bf16 v[52:55], a[150:151], v[32:33], v[52:55]// 0000000047EC: D3E10034 0CD24196
	v_mfma_f32_16x16x16_bf16 v[56:59], a[152:153], v[32:33], v[56:59]// 0000000047F4: D3E10038 0CE24198
	ds_read_b128 a[184:187], v7 offset:47360                   // 0000000047FC: DBFEB900 B8000007
	ds_read_b128 a[188:191], v7 offset:48384                   // 000000004804: DBFEBD00 BC000007
	v_mfma_f32_16x16x16_bf16 v[60:63], a[154:155], v[32:33], v[60:63]// 00000000480C: D3E1003C 0CF2419A
	v_mfma_f32_16x16x16_bf16 v[64:67], a[156:157], v[32:33], v[64:67]// 000000004814: D3E10040 0D02419C
	v_mfma_f32_16x16x16_bf16 v[68:71], a[158:159], v[32:33], v[68:71]// 00000000481C: D3E10044 0D12419E
	v_mfma_f32_16x16x16_bf16 v[72:75], a[160:161], v[32:33], v[72:75]// 000000004824: D3E10048 0D2241A0
	ds_read_b128 a[192:195], v7 offset:49408                   // 00000000482C: DBFEC100 C0000007
	ds_read_b128 a[196:199], v7 offset:50432                   // 000000004834: DBFEC500 C4000007
	v_mfma_f32_16x16x16_bf16 v[76:79], a[162:163], v[32:33], v[76:79]// 00000000483C: D3E1004C 0D3241A2
	v_mfma_f32_16x16x16_bf16 v[80:83], a[164:165], v[32:33], v[80:83]// 000000004844: D3E10050 0D4241A4
	v_mfma_f32_16x16x16_bf16 v[84:87], a[166:167], v[32:33], v[84:87]// 00000000484C: D3E10054 0D5241A6
	v_mfma_f32_16x16x16_bf16 v[88:91], a[168:169], v[32:33], v[88:91]// 000000004854: D3E10058 0D6241A8
	ds_read_b128 a[200:203], v7 offset:51456                   // 00000000485C: DBFEC900 C8000007
	ds_read_b128 a[204:207], v7 offset:52480                   // 000000004864: DBFECD00 CC000007
	v_mfma_f32_16x16x16_bf16 v[92:95], a[170:171], v[32:33], v[92:95]// 00000000486C: D3E1005C 0D7241AA
	v_mfma_f32_16x16x16_bf16 v[96:99], a[172:173], v[32:33], v[96:99]// 000000004874: D3E10060 0D8241AC
	v_mfma_f32_16x16x16_bf16 v[100:103], a[174:175], v[32:33], v[100:103]// 00000000487C: D3E10064 0D9241AE
	s_waitcnt lgkmcnt(4)                                       // 000000004884: BF8CC47F
	v_mfma_f32_16x16x16_bf16 v[104:107], a[176:177], v[32:33], v[104:107]// 000000004888: D3E10068 0DA241B0
	v_mfma_f32_16x16x16_bf16 v[108:111], a[178:179], v[32:33], v[108:111]// 000000004890: D3E1006C 0DB241B2
	v_mfma_f32_16x16x16_bf16 v[112:115], a[180:181], v[32:33], v[112:115]// 000000004898: D3E10070 0DC241B4
	s_waitcnt vmcnt(18) lgkmcnt(0)                             // 0000000048A0: BF8C4072
	s_barrier                                                  // 0000000048A4: BF8A0000
	v_mfma_f32_16x16x16_bf16 v[116:119], a[182:183], v[32:33], v[116:119]// 0000000048A8: D3E10074 0DD241B6
	ds_read_b64 v[20:21], v5                                   // 0000000048B0: D8EC0000 14000005
	ds_read_b64 v[22:23], v5 offset:4640                       // 0000000048B8: D8EC1220 16000005
	v_mfma_f32_16x16x16_bf16 v[120:123], a[184:185], v[32:33], v[120:123]// 0000000048C0: D3E10078 0DE241B8
	ds_read_b64 v[24:25], v5 offset:9280                       // 0000000048C8: D8EC2440 18000005
	ds_read_b64 v[26:27], v5 offset:13920                      // 0000000048D0: D8EC3660 1A000005
	v_mfma_f32_16x16x16_bf16 v[124:127], a[186:187], v[32:33], v[124:127]// 0000000048D8: D3E1007C 0DF241BA
	ds_read_b128 a[144:147], v4                                // 0000000048E0: DBFE0000 90000004
	v_mfma_f32_16x16x16_bf16 v[128:131], a[188:189], v[32:33], v[128:131]// 0000000048E8: D3E10080 0E0241BC
	ds_read_b128 a[148:151], v4 offset:64                      // 0000000048F0: DBFE0040 94000004
	v_mfma_f32_16x16x16_bf16 v[132:135], a[190:191], v[32:33], v[132:135]// 0000000048F8: D3E10084 0E1241BE
	ds_read_b128 a[152:155], v4 offset:256                     // 000000004900: DBFE0100 98000004
	v_mfma_f32_16x16x16_bf16 v[136:139], a[192:193], v[32:33], v[136:139]// 000000004908: D3E10088 0E2241C0
	ds_read_b128 a[156:159], v4 offset:320                     // 000000004910: DBFE0140 9C000004
	v_mfma_f32_16x16x16_bf16 v[140:143], a[194:195], v[32:33], v[140:143]// 000000004918: D3E1008C 0E3241C2
	ds_read_b128 a[160:163], v4 offset:512                     // 000000004920: DBFE0200 A0000004
	v_mfma_f32_16x16x16_bf16 v[144:147], a[196:197], v[32:33], v[144:147]// 000000004928: D3E10090 0E4241C4
	ds_read_b128 a[164:167], v4 offset:576                     // 000000004930: DBFE0240 A4000004
	v_mfma_f32_16x16x16_bf16 v[148:151], a[198:199], v[32:33], v[148:151]// 000000004938: D3E10094 0E5241C6
	ds_read_b128 a[168:171], v4 offset:768                     // 000000004940: DBFE0300 A8000004
	v_mfma_f32_16x16x16_bf16 v[152:155], a[200:201], v[32:33], v[152:155]// 000000004948: D3E10098 0E6241C8
	ds_read_b128 a[172:175], v4 offset:832                     // 000000004950: DBFE0340 AC000004
	v_mfma_f32_16x16x16_bf16 v[156:159], a[202:203], v[32:33], v[156:159]// 000000004958: D3E1009C 0E7241CA
	s_waitcnt lgkmcnt(8)                                       // 000000004960: BF8CC87F
	v_perm_b32 v168, v22, v20, s53                             // 000000004964: D1ED00A8 00D62916
	v_perm_b32 v170, v22, v20, s52                             // 00000000496C: D1ED00AA 00D22916
	v_perm_b32 v169, v26, v24, s53                             // 000000004974: D1ED00A9 00D6311A
	v_perm_b32 v171, v26, v24, s52                             // 00000000497C: D1ED00AB 00D2311A
	v_mfma_f32_16x16x16_bf16 v[160:163], a[204:205], v[32:33], v[160:163]// 000000004984: D3E100A0 0E8241CC
	ds_write_b128 v6, v[168:171] offset:37120                  // 00000000498C: D9BE9100 0000A806
	v_perm_b32 v168, v23, v21, s53                             // 000000004994: D1ED00A8 00D62B17
	v_perm_b32 v170, v23, v21, s52                             // 00000000499C: D1ED00AA 00D22B17
	v_perm_b32 v169, v27, v25, s53                             // 0000000049A4: D1ED00A9 00D6331B
	v_perm_b32 v171, v27, v25, s52                             // 0000000049AC: D1ED00AB 00D2331B
	v_mfma_f32_16x16x16_bf16 v[164:167], a[206:207], v[32:33], v[164:167]// 0000000049B4: D3E100A4 0E9241CE
	ds_write_b128 v6, v[168:171] offset:38144                  // 0000000049BC: D9BE9500 0000A806
	ds_read_b64 v[20:21], v5 offset:1024                       // 0000000049C4: D8EC0400 14000005
	ds_read_b64 v[22:23], v5 offset:5664                       // 0000000049CC: D8EC1620 16000005
	ds_read_b64 v[24:25], v5 offset:10304                      // 0000000049D4: D8EC2840 18000005
	ds_read_b64 v[26:27], v5 offset:14944                      // 0000000049DC: D8EC3A60 1A000005
	s_nop 0                                                    // 0000000049E4: BF800000
	s_addk_i32 s70, 0x1                                        // 0000000049E8: B7460001
	s_cmp_lt_i32 s70, s71                                      // 0000000049EC: BF044746
	s_cbranch_scc0 label_24F8                                  // 0000000049F0: BF840001
	s_branch label_11D4                                        // 0000000049F4: BF82FB37

00000000000049f8 <label_24F8>:
	s_nop 0                                                    // 0000000049F8: BF800000
	s_nop 0                                                    // 0000000049FC: BF800000
	s_branch label_3828                                        // 000000004A00: BF8204C9

0000000000004a04 <label_2504>:
	s_waitcnt lgkmcnt(4)                                       // 000000004A04: BF8CC47F
	v_mfma_f32_16x16x16_bf16 v[32:35], a[144:145], a[0:1], 0   // 000000004A08: D3E10020 1A020190
	buffer_load_dword v10, v8, s[24:27], 0 offen               // 000000004A10: E0501000 80060A08
	v_mfma_f32_16x16x16_bf16 v[32:35], a[146:147], a[2:3], v[32:35]// 000000004A18: D3E10020 1C820592
	ds_read_b128 a[176:179], v4 offset:1024                    // 000000004A20: DBFE0400 B0000004
	ds_read_b128 a[180:183], v4 offset:1088                    // 000000004A28: DBFE0440 B4000004
	v_mfma_f32_16x16x16_bf16 v[32:35], a[148:149], a[4:5], v[32:35]// 000000004A30: D3E10020 1C820994
	v_mfma_f32_16x16x16_bf16 v[32:35], a[150:151], a[6:7], v[32:35]// 000000004A38: D3E10020 1C820D96
	v_mfma_f32_16x16x16_bf16 v[32:35], a[152:153], a[8:9], v[32:35]// 000000004A40: D3E10020 1C821198
	v_mfma_f32_16x16x16_bf16 v[32:35], a[154:155], a[10:11], v[32:35]// 000000004A48: D3E10020 1C82159A
	ds_read_b128 a[184:187], v4 offset:1280                    // 000000004A50: DBFE0500 B8000004
	ds_read_b128 a[188:191], v4 offset:1344                    // 000000004A58: DBFE0540 BC000004
	v_mfma_f32_16x16x16_bf16 v[32:35], a[156:157], a[12:13], v[32:35]// 000000004A60: D3E10020 1C82199C
	v_mfma_f32_16x16x16_bf16 v[32:35], a[158:159], a[14:15], v[32:35]// 000000004A68: D3E10020 1C821D9E
	s_waitcnt lgkmcnt(4)                                       // 000000004A70: BF8CC47F
	v_mfma_f32_16x16x16_bf16 v[32:35], a[160:161], a[16:17], v[32:35]// 000000004A74: D3E10020 1C8221A0
	v_mfma_f32_16x16x16_bf16 v[32:35], a[162:163], a[18:19], v[32:35]// 000000004A7C: D3E10020 1C8225A2
	ds_read_b128 a[192:195], v4 offset:1536                    // 000000004A84: DBFE0600 C0000004
	ds_read_b128 a[196:199], v4 offset:1600                    // 000000004A8C: DBFE0640 C4000004
	v_mfma_f32_16x16x16_bf16 v[32:35], a[164:165], a[20:21], v[32:35]// 000000004A94: D3E10020 1C8229A4
	v_mfma_f32_16x16x16_bf16 v[32:35], a[166:167], a[22:23], v[32:35]// 000000004A9C: D3E10020 1C822DA6
	v_mfma_f32_16x16x16_bf16 v[32:35], a[168:169], a[24:25], v[32:35]// 000000004AA4: D3E10020 1C8231A8
	v_mfma_f32_16x16x16_bf16 v[32:35], a[170:171], a[26:27], v[32:35]// 000000004AAC: D3E10020 1C8235AA
	ds_read_b128 a[200:203], v4 offset:1792                    // 000000004AB4: DBFE0700 C8000004
	ds_read_b128 a[204:207], v4 offset:1856                    // 000000004ABC: DBFE0740 CC000004
	v_mfma_f32_16x16x16_bf16 v[32:35], a[172:173], a[28:29], v[32:35]// 000000004AC4: D3E10020 1C8239AC
	v_mfma_f32_16x16x16_bf16 v[32:35], a[174:175], a[30:31], v[32:35]// 000000004ACC: D3E10020 1C823DAE
	s_waitcnt lgkmcnt(4)                                       // 000000004AD4: BF8CC47F
	s_barrier                                                  // 000000004AD8: BF8A0000
	v_mfma_f32_16x16x16_bf16 v[32:35], a[176:177], a[32:33], v[32:35]// 000000004ADC: D3E10020 1C8241B0
	v_mfma_f32_16x16x16_bf16 v[32:35], a[178:179], a[34:35], v[32:35]// 000000004AE4: D3E10020 1C8245B2
	ds_read_b128 a[208:211], v4 offset:2048                    // 000000004AEC: DBFE0800 D0000004
	ds_read_b128 a[212:215], v4 offset:2112                    // 000000004AF4: DBFE0840 D4000004
	v_mfma_f32_16x16x16_bf16 v[32:35], a[180:181], a[36:37], v[32:35]// 000000004AFC: D3E10020 1C8249B4
	buffer_load_dword v18, s[20:23], 0 offen lds               // 000000004B04: E0511000 80050012
	s_add_u32 m0, 0, s35                                       // 000000004B0C: 807C2380
	v_mfma_f32_16x16x16_bf16 v[32:35], a[182:183], a[38:39], v[32:35]// 000000004B10: D3E10020 1C824DB6
	v_perm_b32 v168, v22, v20, s53                             // 000000004B18: D1ED00A8 00D62916
	v_perm_b32 v170, v22, v20, s52                             // 000000004B20: D1ED00AA 00D22916
	v_perm_b32 v169, v26, v24, s53                             // 000000004B28: D1ED00A9 00D6311A
	v_perm_b32 v171, v26, v24, s52                             // 000000004B30: D1ED00AB 00D2311A
	v_mfma_f32_16x16x16_bf16 v[32:35], a[184:185], a[40:41], v[32:35]// 000000004B38: D3E10020 1C8251B8
	buffer_load_dword v19, s[20:23], 0 offen lds               // 000000004B40: E0511000 80050013
	s_add_u32 m0, 0x80, s34                                    // 000000004B48: 807C22FF 00000080
	v_mfma_f32_16x16x16_bf16 v[32:35], a[186:187], a[42:43], v[32:35]// 000000004B50: D3E10020 1C8255BA
	ds_write_b128 v6, v[168:171] offset:45312                  // 000000004B58: D9BEB100 0000A806
	v_mfma_f32_16x16x16_bf16 v[32:35], a[188:189], a[44:45], v[32:35]// 000000004B60: D3E10020 1C8259BC
	buffer_load_dword v18, s[20:23], 0 offen offset:128 lds    // 000000004B68: E0511080 80050012
	s_add_u32 m0, 0x80, s35                                    // 000000004B70: 807C23FF 00000080
	v_mfma_f32_16x16x16_bf16 v[32:35], a[190:191], a[46:47], v[32:35]// 000000004B78: D3E10020 1C825DBE
	v_perm_b32 v168, v23, v21, s53                             // 000000004B80: D1ED00A8 00D62B17
	v_perm_b32 v170, v23, v21, s52                             // 000000004B88: D1ED00AA 00D22B17
	v_perm_b32 v169, v27, v25, s53                             // 000000004B90: D1ED00A9 00D6331B
	v_perm_b32 v171, v27, v25, s52                             // 000000004B98: D1ED00AB 00D2331B
	s_waitcnt lgkmcnt(1)                                       // 000000004BA0: BF8CC17F
	v_mfma_f32_16x16x16_bf16 v[32:35], a[192:193], a[48:49], v[32:35]// 000000004BA4: D3E10020 1C8261C0
	buffer_load_dword v19, s[20:23], 0 offen offset:128 lds    // 000000004BAC: E0511080 80050013
	s_add_u32 m0, 0x100, s34                                   // 000000004BB4: 807C22FF 00000100
	v_mfma_f32_16x16x16_bf16 v[32:35], a[194:195], a[50:51], v[32:35]// 000000004BBC: D3E10020 1C8265C2
	ds_write_b128 v6, v[168:171] offset:46336                  // 000000004BC4: D9BEB500 0000A806
	v_mfma_f32_16x16x16_bf16 v[32:35], a[196:197], a[52:53], v[32:35]// 000000004BCC: D3E10020 1C8269C4
	buffer_load_dword v18, s[20:23], 0 offen offset:256 lds    // 000000004BD4: E0511100 80050012
	s_add_u32 m0, 0x100, s35                                   // 000000004BDC: 807C23FF 00000100
	v_mfma_f32_16x16x16_bf16 v[32:35], a[198:199], a[54:55], v[32:35]// 000000004BE4: D3E10020 1C826DC6
	v_mfma_f32_16x16x16_bf16 v[32:35], a[200:201], a[56:57], v[32:35]// 000000004BEC: D3E10020 1C8271C8
	buffer_load_dword v19, s[20:23], 0 offen offset:256 lds    // 000000004BF4: E0511100 80050013
	s_add_u32 m0, 0x180, s34                                   // 000000004BFC: 807C22FF 00000180
	v_mfma_f32_16x16x16_bf16 v[32:35], a[202:203], a[58:59], v[32:35]// 000000004C04: D3E10020 1C8275CA
	v_mfma_f32_16x16x16_bf16 v[32:35], a[204:205], a[60:61], v[32:35]// 000000004C0C: D3E10020 1C8279CC
	buffer_load_dword v18, s[20:23], 0 offen offset:384 lds    // 000000004C14: E0511180 80050012
	s_add_u32 m0, 0x180, s35                                   // 000000004C1C: 807C23FF 00000180
	v_mfma_f32_16x16x16_bf16 v[32:35], a[206:207], a[62:63], v[32:35]// 000000004C24: D3E10020 1C827DCE
	v_mfma_f32_16x16x16_bf16 v[32:35], a[208:209], a[64:65], v[32:35]// 000000004C2C: D3E10020 1C8281D0
	buffer_load_dword v19, s[20:23], 0 offen offset:384 lds    // 000000004C34: E0511180 80050013
	s_add_u32 m0, 0x200, s34                                   // 000000004C3C: 807C22FF 00000200
	v_mfma_f32_16x16x16_bf16 v[32:35], a[210:211], a[66:67], v[32:35]// 000000004C44: D3E10020 1C8285D2
	v_mfma_f32_16x16x16_bf16 v[32:35], a[212:213], a[68:69], v[32:35]// 000000004C4C: D3E10020 1C8289D4
	buffer_load_dword v18, s[20:23], 0 offen offset:512 lds    // 000000004C54: E0511200 80050012
	s_add_u32 m0, 0x200, s35                                   // 000000004C5C: 807C23FF 00000200
	v_mfma_f32_16x16x16_bf16 v[32:35], a[214:215], a[70:71], v[32:35]// 000000004C64: D3E10020 1C828DD6
	v_add_u32_e32 v8, s73, v8                                  // 000000004C6C: 68101049
	s_cmp_le_i32 s83, s82                                      // 000000004C70: BF055253
	s_cbranch_scc1 label_2808                                  // 000000004C74: BF850024
	v_mov_b32_e32 v25, 0xff800000                              // 000000004C78: 7E3202FF FF800000
	s_add_u32 s57, s82, 0                                      // 000000004C80: 80398052
	v_mov_b32_e32 v24, s57                                     // 000000004C84: 7E300239
	v_add_u32_e32 v24, s7, v24                                 // 000000004C88: 68303007
	s_sub_u32 s56, s83, 15                                     // 000000004C8C: 80B88F53
	v_lshrrev_b32_e32 v20, 4, v0                               // 000000004C90: 20280084
	v_mul_i32_i24_e32 v20, 4, v20                              // 000000004C94: 0C282884
	v_add_u32_e32 v20, s56, v20                                // 000000004C98: 68282838
	v_add_u32_e32 v21, 1, v20                                  // 000000004C9C: 682A2881
	v_add_u32_e32 v22, 2, v20                                  // 000000004CA0: 682C2882
	v_add_u32_e32 v23, 3, v20                                  // 000000004CA4: 682E2883
	v_cmp_le_u32_e64 s[38:39], v20, v24                        // 000000004CA8: D0CB0026 00023114
	v_add_u32_e32 v20, 64, v20                                 // 000000004CB0: 682828C0
	s_nop 0                                                    // 000000004CB4: BF800000
	v_cndmask_b32_e64 v32, v25, v32, s[38:39]                  // 000000004CB8: D1000020 009A4119
	v_cmp_le_u32_e64 s[38:39], v21, v24                        // 000000004CC0: D0CB0026 00023115
	v_add_u32_e32 v21, 64, v21                                 // 000000004CC8: 682A2AC0
	s_nop 0                                                    // 000000004CCC: BF800000
	v_cndmask_b32_e64 v33, v25, v33, s[38:39]                  // 000000004CD0: D1000021 009A4319
	v_cmp_le_u32_e64 s[38:39], v22, v24                        // 000000004CD8: D0CB0026 00023116
	v_add_u32_e32 v22, 64, v22                                 // 000000004CE0: 682C2CC0
	s_nop 0                                                    // 000000004CE4: BF800000
	v_cndmask_b32_e64 v34, v25, v34, s[38:39]                  // 000000004CE8: D1000022 009A4519
	v_cmp_le_u32_e64 s[38:39], v23, v24                        // 000000004CF0: D0CB0026 00023117
	v_add_u32_e32 v23, 64, v23                                 // 000000004CF8: 682E2EC0
	s_nop 0                                                    // 000000004CFC: BF800000
	v_cndmask_b32_e64 v35, v25, v35, s[38:39]                  // 000000004D00: D1000023 009A4719

0000000000004d08 <label_2808>:
	s_waitcnt lgkmcnt(0)                                       // 000000004D08: BF8CC07F
	s_barrier                                                  // 000000004D0C: BF8A0000
	v_max3_f32 v24, v32, v33, v32                              // 000000004D10: D1D30018 04824320
	v_max3_f32 v24, v34, v35, v24                              // 000000004D18: D1D30018 04624722
	ds_write_b32 v3, v24 offset:53504                          // 000000004D20: D81AD100 00001803
	buffer_load_dword v19, s[20:23], 0 offen offset:512 lds    // 000000004D28: E0511200 80050013
	s_add_u32 m0, 0x280, s34                                   // 000000004D30: 807C22FF 00000280
	buffer_load_dword v18, s[20:23], 0 offen offset:640 lds    // 000000004D38: E0511280 80050012
	s_add_u32 m0, 0x280, s35                                   // 000000004D40: 807C23FF 00000280
	s_waitcnt lgkmcnt(0)                                       // 000000004D48: BF8CC07F
	ds_read_b32 v20, v2 offset:53504                           // 000000004D4C: D86CD100 14000002
	ds_read_b32 v21, v2 offset:53568                           // 000000004D54: D86CD140 15000002
	ds_read_b32 v22, v2 offset:53632                           // 000000004D5C: D86CD180 16000002
	ds_read_b32 v23, v2 offset:53696                           // 000000004D64: D86CD1C0 17000002
	buffer_load_dword v19, s[20:23], 0 offen offset:640 lds    // 000000004D6C: E0511280 80050013
	s_add_u32 m0, 0x300, s34                                   // 000000004D74: 807C22FF 00000300
	buffer_load_dword v18, s[20:23], 0 offen offset:768 lds    // 000000004D7C: E0511300 80050012
	s_add_u32 m0, 0x300, s35                                   // 000000004D84: 807C23FF 00000300
	buffer_load_dword v19, s[20:23], 0 offen offset:768 lds    // 000000004D8C: E0511300 80050013
	s_add_u32 m0, 0x380, s34                                   // 000000004D94: 807C22FF 00000380
	s_waitcnt lgkmcnt(0)                                       // 000000004D9C: BF8CC07F
	v_max3_f32 v24, v20, v21, v24                              // 000000004DA0: D1D30018 04622B14
	v_max3_f32 v24, v22, v23, v24                              // 000000004DA8: D1D30018 04622F16
	buffer_load_dword v18, s[20:23], 0 offen offset:896 lds    // 000000004DB0: E0511380 80050012
	s_add_u32 m0, 0x380, s35                                   // 000000004DB8: 807C23FF 00000380
	buffer_load_dword v19, s[20:23], 0 offen offset:896 lds    // 000000004DC0: E0511380 80050013
	s_add_u32 m0, 0x400, s34                                   // 000000004DC8: 807C22FF 00000400
	buffer_load_dword v18, s[20:23], 0 offen offset:1024 lds   // 000000004DD0: E0511400 80050012
	s_add_u32 m0, 0x400, s35                                   // 000000004DD8: 807C23FF 00000400
	ds_read_b128 a[144:147], v7 offset:37120                   // 000000004DE0: DBFE9100 90000007
	ds_read_b128 a[148:151], v7 offset:38144                   // 000000004DE8: DBFE9500 94000007
	buffer_load_dword v19, s[20:23], 0 offen offset:1024 lds   // 000000004DF0: E0511400 80050013
	s_add_u32 m0, 0x480, s34                                   // 000000004DF8: 807C22FF 00000480
	ds_read_b128 a[152:155], v7 offset:39168                   // 000000004E00: DBFE9900 98000007
	ds_read_b128 a[156:159], v7 offset:40192                   // 000000004E08: DBFE9D00 9C000007
	ds_read_b128 a[160:163], v7 offset:41216                   // 000000004E10: DBFEA100 A0000007
	ds_read_b128 a[164:167], v7 offset:42240                   // 000000004E18: DBFEA500 A4000007
	ds_read_b128 a[168:171], v7 offset:43264                   // 000000004E20: DBFEA900 A8000007
	ds_read_b128 a[172:175], v7 offset:44288                   // 000000004E28: DBFEAD00 AC000007
	v_mov_b32_e32 v25, 0xff7fffff                              // 000000004E30: 7E3202FF FF7FFFFF
	v_cmp_eq_u32_e64 s[38:39], v25, v12                        // 000000004E38: D0CA0026 00021919
	v_max_f32_e32 v20, v24, v12                                // 000000004E40: 16281918
	v_sub_f32_e32 v16, v12, v20                                // 000000004E44: 0420290C
	v_cndmask_b32_e64 v16, v16, 0, s[38:39]                    // 000000004E48: D1000010 00990110
	v_mov_b32_e32 v12, v20                                     // 000000004E50: 7E180314
	v_mul_f32_e32 v21, s5, v20                                 // 000000004E54: 0A2A2805
	v_mul_f32_e32 v16, s5, v16                                 // 000000004E58: 0A202005
	v_exp_f32_e32 v16, v16                                     // 000000004E5C: 7E204110
	v_fma_f32 v32, v32, s5, -v21                               // 000000004E60: D1CB0020 84540B20
	v_fma_f32 v33, v33, s5, -v21                               // 000000004E68: D1CB0021 84540B21
	v_fma_f32 v34, v34, s5, -v21                               // 000000004E70: D1CB0022 84540B22
	v_fma_f32 v35, v35, s5, -v21                               // 000000004E78: D1CB0023 84540B23
	v_exp_f32_e32 v32, v32                                     // 000000004E80: 7E404120
	v_exp_f32_e32 v33, v33                                     // 000000004E84: 7E424121
	v_exp_f32_e32 v34, v34                                     // 000000004E88: 7E444122
	v_exp_f32_e32 v35, v35                                     // 000000004E8C: 7E464123
	v_mul_f32_e32 v14, v16, v14                                // 000000004E90: 0A1C1D10
	v_mov_b32_e32 v22, v32                                     // 000000004E94: 7E2C0320
	v_add_f32_e32 v22, v33, v22                                // 000000004E98: 022C2D21
	v_add_f32_e32 v22, v34, v22                                // 000000004E9C: 022C2D22
	v_add_f32_e32 v22, v35, v22                                // 000000004EA0: 022C2D23
	v_add_f32_e32 v14, v22, v14                                // 000000004EA4: 021C1D16
	v_mov_b32_e32 v29, 0xffff0000                              // 000000004EA8: 7E3A02FF FFFF0000
	v_mov_b32_e32 v30, 0x7fff0000                              // 000000004EB0: 7E3C02FF 7FFF0000
	v_mov_b32_e32 v31, 0x7fff                                  // 000000004EB8: 7E3E02FF 00007FFF
	v_cmp_u_f32_e64 s[38:39], v32, v32                         // 000000004EC0: D0480026 00024120
	v_add3_u32 v28, v32, v31, 1                                // 000000004EC8: D1FF001C 02063F20
	v_cndmask_b32_e64 v20, v28, v30, s[38:39]                  // 000000004ED0: D1000014 009A3D1C
	v_cmp_u_f32_e64 s[38:39], v33, v33                         // 000000004ED8: D0480026 00024321
	v_add3_u32 v28, v33, v31, 1                                // 000000004EE0: D1FF001C 02063F21
	v_cndmask_b32_e64 v21, v28, v30, s[38:39]                  // 000000004EE8: D1000015 009A3D1C
	v_perm_b32 v32, v21, v20, s52                              // 000000004EF0: D1ED0020 00D22915
	v_cmp_u_f32_e64 s[38:39], v34, v34                         // 000000004EF8: D0480026 00024522
	v_add3_u32 v28, v34, v31, 1                                // 000000004F00: D1FF001C 02063F22
	v_cndmask_b32_e64 v20, v28, v30, s[38:39]                  // 000000004F08: D1000014 009A3D1C
	v_cmp_u_f32_e64 s[38:39], v35, v35                         // 000000004F10: D0480026 00024723
	v_add3_u32 v28, v35, v31, 1                                // 000000004F18: D1FF001C 02063F23
	v_cndmask_b32_e64 v21, v28, v30, s[38:39]                  // 000000004F20: D1000015 009A3D1C
	v_perm_b32 v33, v21, v20, s52                              // 000000004F28: D1ED0021 00D22915
	s_nop 2                                                    // 000000004F30: BF800002
	s_add_u32 s83, s84, s83                                    // 000000004F34: 80535354
	s_nop 0                                                    // 000000004F38: BF800000
	v_mul_u32_u24_dpp v18, v11, v9 row_newbcast:0 row_mask:0xf bank_mask:0xf// 000000004F3C: 102412FA FF01500B
	v_mul_u32_u24_dpp v19, v11, v9 row_newbcast:8 row_mask:0xf bank_mask:0xf// 000000004F44: 102612FA FF01580B
	v_add_u32_e32 v18, v18, v1                                 // 000000004F4C: 68240312
	v_add_u32_e32 v19, v19, v1                                 // 000000004F50: 68260313
	s_mov_b32 m0, s36                                          // 000000004F54: BEFC0024
	v_mov_b32_e32 v22, v16                                     // 000000004F58: 7E2C0310
	v_mov_b32_e32 v23, v16                                     // 000000004F5C: 7E2E0310
	v_pk_mul_f32 v[40:41], v[22:23], v[40:41]                  // 000000004F60: D3B14028 18025116
	v_pk_mul_f32 v[42:43], v[22:23], v[42:43]                  // 000000004F68: D3B1402A 18025516
	v_pk_mul_f32 v[44:45], v[22:23], v[44:45]                  // 000000004F70: D3B1402C 18025916
	v_pk_mul_f32 v[46:47], v[22:23], v[46:47]                  // 000000004F78: D3B1402E 18025D16
	v_pk_mul_f32 v[48:49], v[22:23], v[48:49]                  // 000000004F80: D3B14030 18026116
	v_pk_mul_f32 v[50:51], v[22:23], v[50:51]                  // 000000004F88: D3B14032 18026516
	v_pk_mul_f32 v[52:53], v[22:23], v[52:53]                  // 000000004F90: D3B14034 18026916
	v_pk_mul_f32 v[54:55], v[22:23], v[54:55]                  // 000000004F98: D3B14036 18026D16
	v_pk_mul_f32 v[56:57], v[22:23], v[56:57]                  // 000000004FA0: D3B14038 18027116
	v_pk_mul_f32 v[58:59], v[22:23], v[58:59]                  // 000000004FA8: D3B1403A 18027516
	v_pk_mul_f32 v[60:61], v[22:23], v[60:61]                  // 000000004FB0: D3B1403C 18027916
	v_pk_mul_f32 v[62:63], v[22:23], v[62:63]                  // 000000004FB8: D3B1403E 18027D16
	v_pk_mul_f32 v[64:65], v[22:23], v[64:65]                  // 000000004FC0: D3B14040 18028116
	v_pk_mul_f32 v[66:67], v[22:23], v[66:67]                  // 000000004FC8: D3B14042 18028516
	v_pk_mul_f32 v[68:69], v[22:23], v[68:69]                  // 000000004FD0: D3B14044 18028916
	v_pk_mul_f32 v[70:71], v[22:23], v[70:71]                  // 000000004FD8: D3B14046 18028D16
	v_pk_mul_f32 v[72:73], v[22:23], v[72:73]                  // 000000004FE0: D3B14048 18029116
	v_pk_mul_f32 v[74:75], v[22:23], v[74:75]                  // 000000004FE8: D3B1404A 18029516
	v_pk_mul_f32 v[76:77], v[22:23], v[76:77]                  // 000000004FF0: D3B1404C 18029916
	v_pk_mul_f32 v[78:79], v[22:23], v[78:79]                  // 000000004FF8: D3B1404E 18029D16
	v_pk_mul_f32 v[80:81], v[22:23], v[80:81]                  // 000000005000: D3B14050 1802A116
	v_pk_mul_f32 v[82:83], v[22:23], v[82:83]                  // 000000005008: D3B14052 1802A516
	v_pk_mul_f32 v[84:85], v[22:23], v[84:85]                  // 000000005010: D3B14054 1802A916
	v_pk_mul_f32 v[86:87], v[22:23], v[86:87]                  // 000000005018: D3B14056 1802AD16
	v_pk_mul_f32 v[88:89], v[22:23], v[88:89]                  // 000000005020: D3B14058 1802B116
	v_pk_mul_f32 v[90:91], v[22:23], v[90:91]                  // 000000005028: D3B1405A 1802B516
	v_pk_mul_f32 v[92:93], v[22:23], v[92:93]                  // 000000005030: D3B1405C 1802B916
	v_pk_mul_f32 v[94:95], v[22:23], v[94:95]                  // 000000005038: D3B1405E 1802BD16
	v_pk_mul_f32 v[96:97], v[22:23], v[96:97]                  // 000000005040: D3B14060 1802C116
	v_pk_mul_f32 v[98:99], v[22:23], v[98:99]                  // 000000005048: D3B14062 1802C516
	v_pk_mul_f32 v[100:101], v[22:23], v[100:101]              // 000000005050: D3B14064 1802C916
	v_pk_mul_f32 v[102:103], v[22:23], v[102:103]              // 000000005058: D3B14066 1802CD16
	v_pk_mul_f32 v[104:105], v[22:23], v[104:105]              // 000000005060: D3B14068 1802D116
	v_pk_mul_f32 v[106:107], v[22:23], v[106:107]              // 000000005068: D3B1406A 1802D516
	v_pk_mul_f32 v[108:109], v[22:23], v[108:109]              // 000000005070: D3B1406C 1802D916
	v_pk_mul_f32 v[110:111], v[22:23], v[110:111]              // 000000005078: D3B1406E 1802DD16
	v_pk_mul_f32 v[112:113], v[22:23], v[112:113]              // 000000005080: D3B14070 1802E116
	v_pk_mul_f32 v[114:115], v[22:23], v[114:115]              // 000000005088: D3B14072 1802E516
	v_pk_mul_f32 v[116:117], v[22:23], v[116:117]              // 000000005090: D3B14074 1802E916
	v_pk_mul_f32 v[118:119], v[22:23], v[118:119]              // 000000005098: D3B14076 1802ED16
	v_pk_mul_f32 v[120:121], v[22:23], v[120:121]              // 0000000050A0: D3B14078 1802F116
	v_pk_mul_f32 v[122:123], v[22:23], v[122:123]              // 0000000050A8: D3B1407A 1802F516
	v_pk_mul_f32 v[124:125], v[22:23], v[124:125]              // 0000000050B0: D3B1407C 1802F916
	v_pk_mul_f32 v[126:127], v[22:23], v[126:127]              // 0000000050B8: D3B1407E 1802FD16
	v_pk_mul_f32 v[128:129], v[22:23], v[128:129]              // 0000000050C0: D3B14080 18030116
	v_pk_mul_f32 v[130:131], v[22:23], v[130:131]              // 0000000050C8: D3B14082 18030516
	v_pk_mul_f32 v[132:133], v[22:23], v[132:133]              // 0000000050D0: D3B14084 18030916
	v_pk_mul_f32 v[134:135], v[22:23], v[134:135]              // 0000000050D8: D3B14086 18030D16
	v_pk_mul_f32 v[136:137], v[22:23], v[136:137]              // 0000000050E0: D3B14088 18031116
	v_pk_mul_f32 v[138:139], v[22:23], v[138:139]              // 0000000050E8: D3B1408A 18031516
	v_pk_mul_f32 v[140:141], v[22:23], v[140:141]              // 0000000050F0: D3B1408C 18031916
	v_pk_mul_f32 v[142:143], v[22:23], v[142:143]              // 0000000050F8: D3B1408E 18031D16
	v_pk_mul_f32 v[144:145], v[22:23], v[144:145]              // 000000005100: D3B14090 18032116
	v_pk_mul_f32 v[146:147], v[22:23], v[146:147]              // 000000005108: D3B14092 18032516
	v_pk_mul_f32 v[148:149], v[22:23], v[148:149]              // 000000005110: D3B14094 18032916
	v_pk_mul_f32 v[150:151], v[22:23], v[150:151]              // 000000005118: D3B14096 18032D16
	v_pk_mul_f32 v[152:153], v[22:23], v[152:153]              // 000000005120: D3B14098 18033116
	v_pk_mul_f32 v[154:155], v[22:23], v[154:155]              // 000000005128: D3B1409A 18033516
	v_pk_mul_f32 v[156:157], v[22:23], v[156:157]              // 000000005130: D3B1409C 18033916
	v_pk_mul_f32 v[158:159], v[22:23], v[158:159]              // 000000005138: D3B1409E 18033D16
	v_pk_mul_f32 v[160:161], v[22:23], v[160:161]              // 000000005140: D3B140A0 18034116
	v_pk_mul_f32 v[162:163], v[22:23], v[162:163]              // 000000005148: D3B140A2 18034516
	v_pk_mul_f32 v[164:165], v[22:23], v[164:165]              // 000000005150: D3B140A4 18034916
	v_pk_mul_f32 v[166:167], v[22:23], v[166:167]              // 000000005158: D3B140A6 18034D16
	s_waitcnt lgkmcnt(0)                                       // 000000005160: BF8CC07F
	v_mfma_f32_16x16x16_bf16 v[40:43], a[144:145], v[32:33], v[40:43]// 000000005164: D3E10028 0CA24190
	v_mfma_f32_16x16x16_bf16 v[44:47], a[146:147], v[32:33], v[44:47]// 00000000516C: D3E1002C 0CB24192
	ds_read_b128 a[176:179], v7 offset:45312                   // 000000005174: DBFEB100 B0000007
	ds_read_b128 a[180:183], v7 offset:46336                   // 00000000517C: DBFEB500 B4000007
	v_mfma_f32_16x16x16_bf16 v[48:51], a[148:149], v[32:33], v[48:51]// 000000005184: D3E10030 0CC24194
	v_mfma_f32_16x16x16_bf16 v[52:55], a[150:151], v[32:33], v[52:55]// 00000000518C: D3E10034 0CD24196
	v_mfma_f32_16x16x16_bf16 v[56:59], a[152:153], v[32:33], v[56:59]// 000000005194: D3E10038 0CE24198
	v_mfma_f32_16x16x16_bf16 v[60:63], a[154:155], v[32:33], v[60:63]// 00000000519C: D3E1003C 0CF2419A
	ds_read_b128 a[184:187], v7 offset:47360                   // 0000000051A4: DBFEB900 B8000007
	ds_read_b128 a[188:191], v7 offset:48384                   // 0000000051AC: DBFEBD00 BC000007
	v_mfma_f32_16x16x16_bf16 v[64:67], a[156:157], v[32:33], v[64:67]// 0000000051B4: D3E10040 0D02419C
	v_mfma_f32_16x16x16_bf16 v[68:71], a[158:159], v[32:33], v[68:71]// 0000000051BC: D3E10044 0D12419E
	v_mfma_f32_16x16x16_bf16 v[72:75], a[160:161], v[32:33], v[72:75]// 0000000051C4: D3E10048 0D2241A0
	v_mfma_f32_16x16x16_bf16 v[76:79], a[162:163], v[32:33], v[76:79]// 0000000051CC: D3E1004C 0D3241A2
	ds_read_b128 a[192:195], v7 offset:49408                   // 0000000051D4: DBFEC100 C0000007
	ds_read_b128 a[196:199], v7 offset:50432                   // 0000000051DC: DBFEC500 C4000007
	v_mfma_f32_16x16x16_bf16 v[80:83], a[164:165], v[32:33], v[80:83]// 0000000051E4: D3E10050 0D4241A4
	v_mfma_f32_16x16x16_bf16 v[84:87], a[166:167], v[32:33], v[84:87]// 0000000051EC: D3E10054 0D5241A6
	v_mfma_f32_16x16x16_bf16 v[88:91], a[168:169], v[32:33], v[88:91]// 0000000051F4: D3E10058 0D6241A8
	v_mfma_f32_16x16x16_bf16 v[92:95], a[170:171], v[32:33], v[92:95]// 0000000051FC: D3E1005C 0D7241AA
	ds_read_b128 a[200:203], v7 offset:51456                   // 000000005204: DBFEC900 C8000007
	ds_read_b128 a[204:207], v7 offset:52480                   // 00000000520C: DBFECD00 CC000007
	v_mfma_f32_16x16x16_bf16 v[96:99], a[172:173], v[32:33], v[96:99]// 000000005214: D3E10060 0D8241AC
	v_mfma_f32_16x16x16_bf16 v[100:103], a[174:175], v[32:33], v[100:103]// 00000000521C: D3E10064 0D9241AE
	s_waitcnt lgkmcnt(4)                                       // 000000005224: BF8CC47F
	v_mfma_f32_16x16x16_bf16 v[104:107], a[176:177], v[32:33], v[104:107]// 000000005228: D3E10068 0DA241B0
	v_mfma_f32_16x16x16_bf16 v[108:111], a[178:179], v[32:33], v[108:111]// 000000005230: D3E1006C 0DB241B2
	v_mfma_f32_16x16x16_bf16 v[112:115], a[180:181], v[32:33], v[112:115]// 000000005238: D3E10070 0DC241B4
	s_waitcnt vmcnt(18) lgkmcnt(0)                             // 000000005240: BF8C4072
	s_barrier                                                  // 000000005244: BF8A0000
	v_mfma_f32_16x16x16_bf16 v[116:119], a[182:183], v[32:33], v[116:119]// 000000005248: D3E10074 0DD241B6
	ds_read_b64 v[20:21], v5 offset:18560                      // 000000005250: D8EC4880 14000005
	ds_read_b64 v[22:23], v5 offset:23200                      // 000000005258: D8EC5AA0 16000005
	v_mfma_f32_16x16x16_bf16 v[120:123], a[184:185], v[32:33], v[120:123]// 000000005260: D3E10078 0DE241B8
	ds_read_b64 v[24:25], v5 offset:27840                      // 000000005268: D8EC6CC0 18000005
	ds_read_b64 v[26:27], v5 offset:32480                      // 000000005270: D8EC7EE0 1A000005
	v_mfma_f32_16x16x16_bf16 v[124:127], a[186:187], v[32:33], v[124:127]// 000000005278: D3E1007C 0DF241BA
	ds_read_b128 a[144:147], v4 offset:18560                   // 000000005280: DBFE4880 90000004
	v_mfma_f32_16x16x16_bf16 v[128:131], a[188:189], v[32:33], v[128:131]// 000000005288: D3E10080 0E0241BC
	ds_read_b128 a[148:151], v4 offset:18624                   // 000000005290: DBFE48C0 94000004
	v_mfma_f32_16x16x16_bf16 v[132:135], a[190:191], v[32:33], v[132:135]// 000000005298: D3E10084 0E1241BE
	ds_read_b128 a[152:155], v4 offset:18816                   // 0000000052A0: DBFE4980 98000004
	v_mfma_f32_16x16x16_bf16 v[136:139], a[192:193], v[32:33], v[136:139]// 0000000052A8: D3E10088 0E2241C0
	ds_read_b128 a[156:159], v4 offset:18880                   // 0000000052B0: DBFE49C0 9C000004
	v_mfma_f32_16x16x16_bf16 v[140:143], a[194:195], v[32:33], v[140:143]// 0000000052B8: D3E1008C 0E3241C2
	ds_read_b128 a[160:163], v4 offset:19072                   // 0000000052C0: DBFE4A80 A0000004
	v_mfma_f32_16x16x16_bf16 v[144:147], a[196:197], v[32:33], v[144:147]// 0000000052C8: D3E10090 0E4241C4
	ds_read_b128 a[164:167], v4 offset:19136                   // 0000000052D0: DBFE4AC0 A4000004
	v_mfma_f32_16x16x16_bf16 v[148:151], a[198:199], v[32:33], v[148:151]// 0000000052D8: D3E10094 0E5241C6
	ds_read_b128 a[168:171], v4 offset:19328                   // 0000000052E0: DBFE4B80 A8000004
	v_mfma_f32_16x16x16_bf16 v[152:155], a[200:201], v[32:33], v[152:155]// 0000000052E8: D3E10098 0E6241C8
	ds_read_b128 a[172:175], v4 offset:19392                   // 0000000052F0: DBFE4BC0 AC000004
	v_mfma_f32_16x16x16_bf16 v[156:159], a[202:203], v[32:33], v[156:159]// 0000000052F8: D3E1009C 0E7241CA
	s_waitcnt lgkmcnt(8)                                       // 000000005300: BF8CC87F
	v_perm_b32 v168, v22, v20, s53                             // 000000005304: D1ED00A8 00D62916
	v_perm_b32 v170, v22, v20, s52                             // 00000000530C: D1ED00AA 00D22916
	v_perm_b32 v169, v26, v24, s53                             // 000000005314: D1ED00A9 00D6311A
	v_perm_b32 v171, v26, v24, s52                             // 00000000531C: D1ED00AB 00D2311A
	v_mfma_f32_16x16x16_bf16 v[160:163], a[204:205], v[32:33], v[160:163]// 000000005324: D3E100A0 0E8241CC
	ds_write_b128 v6, v[168:171] offset:37120                  // 00000000532C: D9BE9100 0000A806
	v_perm_b32 v168, v23, v21, s53                             // 000000005334: D1ED00A8 00D62B17
	v_perm_b32 v170, v23, v21, s52                             // 00000000533C: D1ED00AA 00D22B17
	v_perm_b32 v169, v27, v25, s53                             // 000000005344: D1ED00A9 00D6331B
	v_perm_b32 v171, v27, v25, s52                             // 00000000534C: D1ED00AB 00D2331B
	v_mfma_f32_16x16x16_bf16 v[164:167], a[206:207], v[32:33], v[164:167]// 000000005354: D3E100A4 0E9241CE
	ds_write_b128 v6, v[168:171] offset:38144                  // 00000000535C: D9BE9500 0000A806
	ds_read_b64 v[20:21], v5 offset:19584                      // 000000005364: D8EC4C80 14000005
	ds_read_b64 v[22:23], v5 offset:24224                      // 00000000536C: D8EC5EA0 16000005
	ds_read_b64 v[24:25], v5 offset:28864                      // 000000005374: D8EC70C0 18000005
	ds_read_b64 v[26:27], v5 offset:33504                      // 00000000537C: D8EC82E0 1A000005
	s_nop 0                                                    // 000000005384: BF800000
	s_addk_i32 s70, 0x1                                        // 000000005388: B7460001
	s_cmp_lt_i32 s70, s71                                      // 00000000538C: BF044746
	s_cbranch_scc0 label_24F8                                  // 000000005390: BF84FD99
	s_waitcnt lgkmcnt(4)                                       // 000000005394: BF8CC47F
	v_mfma_f32_16x16x16_bf16 v[32:35], a[144:145], a[0:1], 0   // 000000005398: D3E10020 1A020190
	buffer_load_dword v11, v8, s[24:27], 0 offen               // 0000000053A0: E0501000 80060B08
	v_mfma_f32_16x16x16_bf16 v[32:35], a[146:147], a[2:3], v[32:35]// 0000000053A8: D3E10020 1C820592
	ds_read_b128 a[176:179], v4 offset:19584                   // 0000000053B0: DBFE4C80 B0000004
	ds_read_b128 a[180:183], v4 offset:19648                   // 0000000053B8: DBFE4CC0 B4000004
	v_mfma_f32_16x16x16_bf16 v[32:35], a[148:149], a[4:5], v[32:35]// 0000000053C0: D3E10020 1C820994
	v_mfma_f32_16x16x16_bf16 v[32:35], a[150:151], a[6:7], v[32:35]// 0000000053C8: D3E10020 1C820D96
	v_mfma_f32_16x16x16_bf16 v[32:35], a[152:153], a[8:9], v[32:35]// 0000000053D0: D3E10020 1C821198
	v_mfma_f32_16x16x16_bf16 v[32:35], a[154:155], a[10:11], v[32:35]// 0000000053D8: D3E10020 1C82159A
	ds_read_b128 a[184:187], v4 offset:19840                   // 0000000053E0: DBFE4D80 B8000004
	ds_read_b128 a[188:191], v4 offset:19904                   // 0000000053E8: DBFE4DC0 BC000004
	v_mfma_f32_16x16x16_bf16 v[32:35], a[156:157], a[12:13], v[32:35]// 0000000053F0: D3E10020 1C82199C
	v_mfma_f32_16x16x16_bf16 v[32:35], a[158:159], a[14:15], v[32:35]// 0000000053F8: D3E10020 1C821D9E
	s_waitcnt lgkmcnt(4)                                       // 000000005400: BF8CC47F
	v_mfma_f32_16x16x16_bf16 v[32:35], a[160:161], a[16:17], v[32:35]// 000000005404: D3E10020 1C8221A0
	v_mfma_f32_16x16x16_bf16 v[32:35], a[162:163], a[18:19], v[32:35]// 00000000540C: D3E10020 1C8225A2
	ds_read_b128 a[192:195], v4 offset:20096                   // 000000005414: DBFE4E80 C0000004
	ds_read_b128 a[196:199], v4 offset:20160                   // 00000000541C: DBFE4EC0 C4000004
	v_mfma_f32_16x16x16_bf16 v[32:35], a[164:165], a[20:21], v[32:35]// 000000005424: D3E10020 1C8229A4
	v_mfma_f32_16x16x16_bf16 v[32:35], a[166:167], a[22:23], v[32:35]// 00000000542C: D3E10020 1C822DA6
	v_mfma_f32_16x16x16_bf16 v[32:35], a[168:169], a[24:25], v[32:35]// 000000005434: D3E10020 1C8231A8
	v_mfma_f32_16x16x16_bf16 v[32:35], a[170:171], a[26:27], v[32:35]// 00000000543C: D3E10020 1C8235AA
	ds_read_b128 a[200:203], v4 offset:20352                   // 000000005444: DBFE4F80 C8000004
	ds_read_b128 a[204:207], v4 offset:20416                   // 00000000544C: DBFE4FC0 CC000004
	v_mfma_f32_16x16x16_bf16 v[32:35], a[172:173], a[28:29], v[32:35]// 000000005454: D3E10020 1C8239AC
	v_mfma_f32_16x16x16_bf16 v[32:35], a[174:175], a[30:31], v[32:35]// 00000000545C: D3E10020 1C823DAE
	s_waitcnt lgkmcnt(4)                                       // 000000005464: BF8CC47F
	s_barrier                                                  // 000000005468: BF8A0000
	v_mfma_f32_16x16x16_bf16 v[32:35], a[176:177], a[32:33], v[32:35]// 00000000546C: D3E10020 1C8241B0
	v_mfma_f32_16x16x16_bf16 v[32:35], a[178:179], a[34:35], v[32:35]// 000000005474: D3E10020 1C8245B2
	ds_read_b128 a[208:211], v4 offset:20608                   // 00000000547C: DBFE5080 D0000004
	ds_read_b128 a[212:215], v4 offset:20672                   // 000000005484: DBFE50C0 D4000004
	v_mfma_f32_16x16x16_bf16 v[32:35], a[180:181], a[36:37], v[32:35]// 00000000548C: D3E10020 1C8249B4
	buffer_load_dword v18, s[20:23], 0 offen lds               // 000000005494: E0511000 80050012
	s_add_u32 m0, 0, s37                                       // 00000000549C: 807C2580
	v_mfma_f32_16x16x16_bf16 v[32:35], a[182:183], a[38:39], v[32:35]// 0000000054A0: D3E10020 1C824DB6
	v_perm_b32 v168, v22, v20, s53                             // 0000000054A8: D1ED00A8 00D62916
	v_perm_b32 v170, v22, v20, s52                             // 0000000054B0: D1ED00AA 00D22916
	v_perm_b32 v169, v26, v24, s53                             // 0000000054B8: D1ED00A9 00D6311A
	v_perm_b32 v171, v26, v24, s52                             // 0000000054C0: D1ED00AB 00D2311A
	v_mfma_f32_16x16x16_bf16 v[32:35], a[184:185], a[40:41], v[32:35]// 0000000054C8: D3E10020 1C8251B8
	buffer_load_dword v19, s[20:23], 0 offen lds               // 0000000054D0: E0511000 80050013
	s_add_u32 m0, 0x80, s36                                    // 0000000054D8: 807C24FF 00000080
	v_mfma_f32_16x16x16_bf16 v[32:35], a[186:187], a[42:43], v[32:35]// 0000000054E0: D3E10020 1C8255BA
	ds_write_b128 v6, v[168:171] offset:45312                  // 0000000054E8: D9BEB100 0000A806
	v_mfma_f32_16x16x16_bf16 v[32:35], a[188:189], a[44:45], v[32:35]// 0000000054F0: D3E10020 1C8259BC
	buffer_load_dword v18, s[20:23], 0 offen offset:128 lds    // 0000000054F8: E0511080 80050012
	s_add_u32 m0, 0x80, s37                                    // 000000005500: 807C25FF 00000080
	v_mfma_f32_16x16x16_bf16 v[32:35], a[190:191], a[46:47], v[32:35]// 000000005508: D3E10020 1C825DBE
	v_perm_b32 v168, v23, v21, s53                             // 000000005510: D1ED00A8 00D62B17
	v_perm_b32 v170, v23, v21, s52                             // 000000005518: D1ED00AA 00D22B17
	v_perm_b32 v169, v27, v25, s53                             // 000000005520: D1ED00A9 00D6331B
	v_perm_b32 v171, v27, v25, s52                             // 000000005528: D1ED00AB 00D2331B
	s_waitcnt lgkmcnt(1)                                       // 000000005530: BF8CC17F
	v_mfma_f32_16x16x16_bf16 v[32:35], a[192:193], a[48:49], v[32:35]// 000000005534: D3E10020 1C8261C0
	buffer_load_dword v19, s[20:23], 0 offen offset:128 lds    // 00000000553C: E0511080 80050013
	s_add_u32 m0, 0x100, s36                                   // 000000005544: 807C24FF 00000100
	v_mfma_f32_16x16x16_bf16 v[32:35], a[194:195], a[50:51], v[32:35]// 00000000554C: D3E10020 1C8265C2
	ds_write_b128 v6, v[168:171] offset:46336                  // 000000005554: D9BEB500 0000A806
	v_mfma_f32_16x16x16_bf16 v[32:35], a[196:197], a[52:53], v[32:35]// 00000000555C: D3E10020 1C8269C4
	buffer_load_dword v18, s[20:23], 0 offen offset:256 lds    // 000000005564: E0511100 80050012
	s_add_u32 m0, 0x100, s37                                   // 00000000556C: 807C25FF 00000100
	v_mfma_f32_16x16x16_bf16 v[32:35], a[198:199], a[54:55], v[32:35]// 000000005574: D3E10020 1C826DC6
	v_mfma_f32_16x16x16_bf16 v[32:35], a[200:201], a[56:57], v[32:35]// 00000000557C: D3E10020 1C8271C8
	buffer_load_dword v19, s[20:23], 0 offen offset:256 lds    // 000000005584: E0511100 80050013
	s_add_u32 m0, 0x180, s36                                   // 00000000558C: 807C24FF 00000180
	v_mfma_f32_16x16x16_bf16 v[32:35], a[202:203], a[58:59], v[32:35]// 000000005594: D3E10020 1C8275CA
	v_mfma_f32_16x16x16_bf16 v[32:35], a[204:205], a[60:61], v[32:35]// 00000000559C: D3E10020 1C8279CC
	buffer_load_dword v18, s[20:23], 0 offen offset:384 lds    // 0000000055A4: E0511180 80050012
	s_add_u32 m0, 0x180, s37                                   // 0000000055AC: 807C25FF 00000180
	v_mfma_f32_16x16x16_bf16 v[32:35], a[206:207], a[62:63], v[32:35]// 0000000055B4: D3E10020 1C827DCE
	v_mfma_f32_16x16x16_bf16 v[32:35], a[208:209], a[64:65], v[32:35]// 0000000055BC: D3E10020 1C8281D0
	buffer_load_dword v19, s[20:23], 0 offen offset:384 lds    // 0000000055C4: E0511180 80050013
	s_add_u32 m0, 0x200, s36                                   // 0000000055CC: 807C24FF 00000200
	v_mfma_f32_16x16x16_bf16 v[32:35], a[210:211], a[66:67], v[32:35]// 0000000055D4: D3E10020 1C8285D2
	v_mfma_f32_16x16x16_bf16 v[32:35], a[212:213], a[68:69], v[32:35]// 0000000055DC: D3E10020 1C8289D4
	buffer_load_dword v18, s[20:23], 0 offen offset:512 lds    // 0000000055E4: E0511200 80050012
	s_add_u32 m0, 0x200, s37                                   // 0000000055EC: 807C25FF 00000200
	v_mfma_f32_16x16x16_bf16 v[32:35], a[214:215], a[70:71], v[32:35]// 0000000055F4: D3E10020 1C828DD6
	v_add_u32_e32 v8, s73, v8                                  // 0000000055FC: 68101049
	s_cmp_le_i32 s83, s82                                      // 000000005600: BF055253
	s_cbranch_scc1 label_3198                                  // 000000005604: BF850024
	v_mov_b32_e32 v25, 0xff800000                              // 000000005608: 7E3202FF FF800000
	s_add_u32 s57, s82, 0                                      // 000000005610: 80398052
	v_mov_b32_e32 v24, s57                                     // 000000005614: 7E300239
	v_add_u32_e32 v24, s7, v24                                 // 000000005618: 68303007
	s_sub_u32 s56, s83, 15                                     // 00000000561C: 80B88F53
	v_lshrrev_b32_e32 v20, 4, v0                               // 000000005620: 20280084
	v_mul_i32_i24_e32 v20, 4, v20                              // 000000005624: 0C282884
	v_add_u32_e32 v20, s56, v20                                // 000000005628: 68282838
	v_add_u32_e32 v21, 1, v20                                  // 00000000562C: 682A2881
	v_add_u32_e32 v22, 2, v20                                  // 000000005630: 682C2882
	v_add_u32_e32 v23, 3, v20                                  // 000000005634: 682E2883
	v_cmp_le_u32_e64 s[38:39], v20, v24                        // 000000005638: D0CB0026 00023114
	v_add_u32_e32 v20, 64, v20                                 // 000000005640: 682828C0
	s_nop 0                                                    // 000000005644: BF800000
	v_cndmask_b32_e64 v32, v25, v32, s[38:39]                  // 000000005648: D1000020 009A4119
	v_cmp_le_u32_e64 s[38:39], v21, v24                        // 000000005650: D0CB0026 00023115
	v_add_u32_e32 v21, 64, v21                                 // 000000005658: 682A2AC0
	s_nop 0                                                    // 00000000565C: BF800000
	v_cndmask_b32_e64 v33, v25, v33, s[38:39]                  // 000000005660: D1000021 009A4319
	v_cmp_le_u32_e64 s[38:39], v22, v24                        // 000000005668: D0CB0026 00023116
	v_add_u32_e32 v22, 64, v22                                 // 000000005670: 682C2CC0
	s_nop 0                                                    // 000000005674: BF800000
	v_cndmask_b32_e64 v34, v25, v34, s[38:39]                  // 000000005678: D1000022 009A4519
	v_cmp_le_u32_e64 s[38:39], v23, v24                        // 000000005680: D0CB0026 00023117
	v_add_u32_e32 v23, 64, v23                                 // 000000005688: 682E2EC0
	s_nop 0                                                    // 00000000568C: BF800000
	v_cndmask_b32_e64 v35, v25, v35, s[38:39]                  // 000000005690: D1000023 009A4719

0000000000005698 <label_3198>:
	s_waitcnt lgkmcnt(0)                                       // 000000005698: BF8CC07F
	s_barrier                                                  // 00000000569C: BF8A0000
	v_max3_f32 v24, v32, v33, v32                              // 0000000056A0: D1D30018 04824320
	v_max3_f32 v24, v34, v35, v24                              // 0000000056A8: D1D30018 04624722
	ds_write_b32 v3, v24 offset:53504                          // 0000000056B0: D81AD100 00001803
	buffer_load_dword v19, s[20:23], 0 offen offset:512 lds    // 0000000056B8: E0511200 80050013
	s_add_u32 m0, 0x280, s36                                   // 0000000056C0: 807C24FF 00000280
	buffer_load_dword v18, s[20:23], 0 offen offset:640 lds    // 0000000056C8: E0511280 80050012
	s_add_u32 m0, 0x280, s37                                   // 0000000056D0: 807C25FF 00000280
	s_waitcnt lgkmcnt(0)                                       // 0000000056D8: BF8CC07F
	ds_read_b32 v20, v2 offset:53504                           // 0000000056DC: D86CD100 14000002
	ds_read_b32 v21, v2 offset:53568                           // 0000000056E4: D86CD140 15000002
	ds_read_b32 v22, v2 offset:53632                           // 0000000056EC: D86CD180 16000002
	ds_read_b32 v23, v2 offset:53696                           // 0000000056F4: D86CD1C0 17000002
	buffer_load_dword v19, s[20:23], 0 offen offset:640 lds    // 0000000056FC: E0511280 80050013
	s_add_u32 m0, 0x300, s36                                   // 000000005704: 807C24FF 00000300
	buffer_load_dword v18, s[20:23], 0 offen offset:768 lds    // 00000000570C: E0511300 80050012
	s_add_u32 m0, 0x300, s37                                   // 000000005714: 807C25FF 00000300
	buffer_load_dword v19, s[20:23], 0 offen offset:768 lds    // 00000000571C: E0511300 80050013
	s_add_u32 m0, 0x380, s36                                   // 000000005724: 807C24FF 00000380
	s_waitcnt lgkmcnt(0)                                       // 00000000572C: BF8CC07F
	v_max3_f32 v24, v20, v21, v24                              // 000000005730: D1D30018 04622B14
	v_max3_f32 v24, v22, v23, v24                              // 000000005738: D1D30018 04622F16
	buffer_load_dword v18, s[20:23], 0 offen offset:896 lds    // 000000005740: E0511380 80050012
	s_add_u32 m0, 0x380, s37                                   // 000000005748: 807C25FF 00000380
	buffer_load_dword v19, s[20:23], 0 offen offset:896 lds    // 000000005750: E0511380 80050013
	s_add_u32 m0, 0x400, s36                                   // 000000005758: 807C24FF 00000400
	buffer_load_dword v18, s[20:23], 0 offen offset:1024 lds   // 000000005760: E0511400 80050012
	s_add_u32 m0, 0x400, s37                                   // 000000005768: 807C25FF 00000400
	ds_read_b128 a[144:147], v7 offset:37120                   // 000000005770: DBFE9100 90000007
	ds_read_b128 a[148:151], v7 offset:38144                   // 000000005778: DBFE9500 94000007
	buffer_load_dword v19, s[20:23], 0 offen offset:1024 lds   // 000000005780: E0511400 80050013
	s_add_u32 m0, 0x480, s36                                   // 000000005788: 807C24FF 00000480
	ds_read_b128 a[152:155], v7 offset:39168                   // 000000005790: DBFE9900 98000007
	ds_read_b128 a[156:159], v7 offset:40192                   // 000000005798: DBFE9D00 9C000007
	ds_read_b128 a[160:163], v7 offset:41216                   // 0000000057A0: DBFEA100 A0000007
	ds_read_b128 a[164:167], v7 offset:42240                   // 0000000057A8: DBFEA500 A4000007
	ds_read_b128 a[168:171], v7 offset:43264                   // 0000000057B0: DBFEA900 A8000007
	ds_read_b128 a[172:175], v7 offset:44288                   // 0000000057B8: DBFEAD00 AC000007
	v_mov_b32_e32 v25, 0xff7fffff                              // 0000000057C0: 7E3202FF FF7FFFFF
	v_cmp_eq_u32_e64 s[38:39], v25, v12                        // 0000000057C8: D0CA0026 00021919
	v_max_f32_e32 v20, v24, v12                                // 0000000057D0: 16281918
	v_sub_f32_e32 v16, v12, v20                                // 0000000057D4: 0420290C
	v_cndmask_b32_e64 v16, v16, 0, s[38:39]                    // 0000000057D8: D1000010 00990110
	v_mov_b32_e32 v12, v20                                     // 0000000057E0: 7E180314
	v_mul_f32_e32 v21, s5, v20                                 // 0000000057E4: 0A2A2805
	v_mul_f32_e32 v16, s5, v16                                 // 0000000057E8: 0A202005
	v_exp_f32_e32 v16, v16                                     // 0000000057EC: 7E204110
	v_fma_f32 v32, v32, s5, -v21                               // 0000000057F0: D1CB0020 84540B20
	v_fma_f32 v33, v33, s5, -v21                               // 0000000057F8: D1CB0021 84540B21
	v_fma_f32 v34, v34, s5, -v21                               // 000000005800: D1CB0022 84540B22
	v_fma_f32 v35, v35, s5, -v21                               // 000000005808: D1CB0023 84540B23
	v_exp_f32_e32 v32, v32                                     // 000000005810: 7E404120
	v_exp_f32_e32 v33, v33                                     // 000000005814: 7E424121
	v_exp_f32_e32 v34, v34                                     // 000000005818: 7E444122
	v_exp_f32_e32 v35, v35                                     // 00000000581C: 7E464123
	v_mul_f32_e32 v14, v16, v14                                // 000000005820: 0A1C1D10
	v_mov_b32_e32 v22, v32                                     // 000000005824: 7E2C0320
	v_add_f32_e32 v22, v33, v22                                // 000000005828: 022C2D21
	v_add_f32_e32 v22, v34, v22                                // 00000000582C: 022C2D22
	v_add_f32_e32 v22, v35, v22                                // 000000005830: 022C2D23
	v_add_f32_e32 v14, v22, v14                                // 000000005834: 021C1D16
	v_mov_b32_e32 v29, 0xffff0000                              // 000000005838: 7E3A02FF FFFF0000
	v_mov_b32_e32 v30, 0x7fff0000                              // 000000005840: 7E3C02FF 7FFF0000
	v_mov_b32_e32 v31, 0x7fff                                  // 000000005848: 7E3E02FF 00007FFF
	v_cmp_u_f32_e64 s[38:39], v32, v32                         // 000000005850: D0480026 00024120
	v_add3_u32 v28, v32, v31, 1                                // 000000005858: D1FF001C 02063F20
	v_cndmask_b32_e64 v20, v28, v30, s[38:39]                  // 000000005860: D1000014 009A3D1C
	v_cmp_u_f32_e64 s[38:39], v33, v33                         // 000000005868: D0480026 00024321
	v_add3_u32 v28, v33, v31, 1                                // 000000005870: D1FF001C 02063F21
	v_cndmask_b32_e64 v21, v28, v30, s[38:39]                  // 000000005878: D1000015 009A3D1C
	v_perm_b32 v32, v21, v20, s52                              // 000000005880: D1ED0020 00D22915
	v_cmp_u_f32_e64 s[38:39], v34, v34                         // 000000005888: D0480026 00024522
	v_add3_u32 v28, v34, v31, 1                                // 000000005890: D1FF001C 02063F22
	v_cndmask_b32_e64 v20, v28, v30, s[38:39]                  // 000000005898: D1000014 009A3D1C
	v_cmp_u_f32_e64 s[38:39], v35, v35                         // 0000000058A0: D0480026 00024723
	v_add3_u32 v28, v35, v31, 1                                // 0000000058A8: D1FF001C 02063F23
	v_cndmask_b32_e64 v21, v28, v30, s[38:39]                  // 0000000058B0: D1000015 009A3D1C
	v_perm_b32 v33, v21, v20, s52                              // 0000000058B8: D1ED0021 00D22915
	s_nop 2                                                    // 0000000058C0: BF800002
	s_add_u32 s83, s84, s83                                    // 0000000058C4: 80535354
	s_nop 0                                                    // 0000000058C8: BF800000
	v_mul_u32_u24_dpp v18, v10, v9 row_newbcast:0 row_mask:0xf bank_mask:0xf// 0000000058CC: 102412FA FF01500A
	v_mul_u32_u24_dpp v19, v10, v9 row_newbcast:8 row_mask:0xf bank_mask:0xf// 0000000058D4: 102612FA FF01580A
	v_add_u32_e32 v18, v18, v1                                 // 0000000058DC: 68240312
	v_add_u32_e32 v19, v19, v1                                 // 0000000058E0: 68260313
	s_mov_b32 m0, s34                                          // 0000000058E4: BEFC0022
	v_mov_b32_e32 v22, v16                                     // 0000000058E8: 7E2C0310
	v_mov_b32_e32 v23, v16                                     // 0000000058EC: 7E2E0310
	v_pk_mul_f32 v[40:41], v[22:23], v[40:41]                  // 0000000058F0: D3B14028 18025116
	v_pk_mul_f32 v[42:43], v[22:23], v[42:43]                  // 0000000058F8: D3B1402A 18025516
	v_pk_mul_f32 v[44:45], v[22:23], v[44:45]                  // 000000005900: D3B1402C 18025916
	v_pk_mul_f32 v[46:47], v[22:23], v[46:47]                  // 000000005908: D3B1402E 18025D16
	v_pk_mul_f32 v[48:49], v[22:23], v[48:49]                  // 000000005910: D3B14030 18026116
	v_pk_mul_f32 v[50:51], v[22:23], v[50:51]                  // 000000005918: D3B14032 18026516
	v_pk_mul_f32 v[52:53], v[22:23], v[52:53]                  // 000000005920: D3B14034 18026916
	v_pk_mul_f32 v[54:55], v[22:23], v[54:55]                  // 000000005928: D3B14036 18026D16
	v_pk_mul_f32 v[56:57], v[22:23], v[56:57]                  // 000000005930: D3B14038 18027116
	v_pk_mul_f32 v[58:59], v[22:23], v[58:59]                  // 000000005938: D3B1403A 18027516
	v_pk_mul_f32 v[60:61], v[22:23], v[60:61]                  // 000000005940: D3B1403C 18027916
	v_pk_mul_f32 v[62:63], v[22:23], v[62:63]                  // 000000005948: D3B1403E 18027D16
	v_pk_mul_f32 v[64:65], v[22:23], v[64:65]                  // 000000005950: D3B14040 18028116
	v_pk_mul_f32 v[66:67], v[22:23], v[66:67]                  // 000000005958: D3B14042 18028516
	v_pk_mul_f32 v[68:69], v[22:23], v[68:69]                  // 000000005960: D3B14044 18028916
	v_pk_mul_f32 v[70:71], v[22:23], v[70:71]                  // 000000005968: D3B14046 18028D16
	v_pk_mul_f32 v[72:73], v[22:23], v[72:73]                  // 000000005970: D3B14048 18029116
	v_pk_mul_f32 v[74:75], v[22:23], v[74:75]                  // 000000005978: D3B1404A 18029516
	v_pk_mul_f32 v[76:77], v[22:23], v[76:77]                  // 000000005980: D3B1404C 18029916
	v_pk_mul_f32 v[78:79], v[22:23], v[78:79]                  // 000000005988: D3B1404E 18029D16
	v_pk_mul_f32 v[80:81], v[22:23], v[80:81]                  // 000000005990: D3B14050 1802A116
	v_pk_mul_f32 v[82:83], v[22:23], v[82:83]                  // 000000005998: D3B14052 1802A516
	v_pk_mul_f32 v[84:85], v[22:23], v[84:85]                  // 0000000059A0: D3B14054 1802A916
	v_pk_mul_f32 v[86:87], v[22:23], v[86:87]                  // 0000000059A8: D3B14056 1802AD16
	v_pk_mul_f32 v[88:89], v[22:23], v[88:89]                  // 0000000059B0: D3B14058 1802B116
	v_pk_mul_f32 v[90:91], v[22:23], v[90:91]                  // 0000000059B8: D3B1405A 1802B516
	v_pk_mul_f32 v[92:93], v[22:23], v[92:93]                  // 0000000059C0: D3B1405C 1802B916
	v_pk_mul_f32 v[94:95], v[22:23], v[94:95]                  // 0000000059C8: D3B1405E 1802BD16
	v_pk_mul_f32 v[96:97], v[22:23], v[96:97]                  // 0000000059D0: D3B14060 1802C116
	v_pk_mul_f32 v[98:99], v[22:23], v[98:99]                  // 0000000059D8: D3B14062 1802C516
	v_pk_mul_f32 v[100:101], v[22:23], v[100:101]              // 0000000059E0: D3B14064 1802C916
	v_pk_mul_f32 v[102:103], v[22:23], v[102:103]              // 0000000059E8: D3B14066 1802CD16
	v_pk_mul_f32 v[104:105], v[22:23], v[104:105]              // 0000000059F0: D3B14068 1802D116
	v_pk_mul_f32 v[106:107], v[22:23], v[106:107]              // 0000000059F8: D3B1406A 1802D516
	v_pk_mul_f32 v[108:109], v[22:23], v[108:109]              // 000000005A00: D3B1406C 1802D916
	v_pk_mul_f32 v[110:111], v[22:23], v[110:111]              // 000000005A08: D3B1406E 1802DD16
	v_pk_mul_f32 v[112:113], v[22:23], v[112:113]              // 000000005A10: D3B14070 1802E116
	v_pk_mul_f32 v[114:115], v[22:23], v[114:115]              // 000000005A18: D3B14072 1802E516
	v_pk_mul_f32 v[116:117], v[22:23], v[116:117]              // 000000005A20: D3B14074 1802E916
	v_pk_mul_f32 v[118:119], v[22:23], v[118:119]              // 000000005A28: D3B14076 1802ED16
	v_pk_mul_f32 v[120:121], v[22:23], v[120:121]              // 000000005A30: D3B14078 1802F116
	v_pk_mul_f32 v[122:123], v[22:23], v[122:123]              // 000000005A38: D3B1407A 1802F516
	v_pk_mul_f32 v[124:125], v[22:23], v[124:125]              // 000000005A40: D3B1407C 1802F916
	v_pk_mul_f32 v[126:127], v[22:23], v[126:127]              // 000000005A48: D3B1407E 1802FD16
	v_pk_mul_f32 v[128:129], v[22:23], v[128:129]              // 000000005A50: D3B14080 18030116
	v_pk_mul_f32 v[130:131], v[22:23], v[130:131]              // 000000005A58: D3B14082 18030516
	v_pk_mul_f32 v[132:133], v[22:23], v[132:133]              // 000000005A60: D3B14084 18030916
	v_pk_mul_f32 v[134:135], v[22:23], v[134:135]              // 000000005A68: D3B14086 18030D16
	v_pk_mul_f32 v[136:137], v[22:23], v[136:137]              // 000000005A70: D3B14088 18031116
	v_pk_mul_f32 v[138:139], v[22:23], v[138:139]              // 000000005A78: D3B1408A 18031516
	v_pk_mul_f32 v[140:141], v[22:23], v[140:141]              // 000000005A80: D3B1408C 18031916
	v_pk_mul_f32 v[142:143], v[22:23], v[142:143]              // 000000005A88: D3B1408E 18031D16
	v_pk_mul_f32 v[144:145], v[22:23], v[144:145]              // 000000005A90: D3B14090 18032116
	v_pk_mul_f32 v[146:147], v[22:23], v[146:147]              // 000000005A98: D3B14092 18032516
	v_pk_mul_f32 v[148:149], v[22:23], v[148:149]              // 000000005AA0: D3B14094 18032916
	v_pk_mul_f32 v[150:151], v[22:23], v[150:151]              // 000000005AA8: D3B14096 18032D16
	v_pk_mul_f32 v[152:153], v[22:23], v[152:153]              // 000000005AB0: D3B14098 18033116
	v_pk_mul_f32 v[154:155], v[22:23], v[154:155]              // 000000005AB8: D3B1409A 18033516
	v_pk_mul_f32 v[156:157], v[22:23], v[156:157]              // 000000005AC0: D3B1409C 18033916
	v_pk_mul_f32 v[158:159], v[22:23], v[158:159]              // 000000005AC8: D3B1409E 18033D16
	v_pk_mul_f32 v[160:161], v[22:23], v[160:161]              // 000000005AD0: D3B140A0 18034116
	v_pk_mul_f32 v[162:163], v[22:23], v[162:163]              // 000000005AD8: D3B140A2 18034516
	v_pk_mul_f32 v[164:165], v[22:23], v[164:165]              // 000000005AE0: D3B140A4 18034916
	v_pk_mul_f32 v[166:167], v[22:23], v[166:167]              // 000000005AE8: D3B140A6 18034D16
	s_waitcnt lgkmcnt(0)                                       // 000000005AF0: BF8CC07F
	v_mfma_f32_16x16x16_bf16 v[40:43], a[144:145], v[32:33], v[40:43]// 000000005AF4: D3E10028 0CA24190
	v_mfma_f32_16x16x16_bf16 v[44:47], a[146:147], v[32:33], v[44:47]// 000000005AFC: D3E1002C 0CB24192
	ds_read_b128 a[176:179], v7 offset:45312                   // 000000005B04: DBFEB100 B0000007
	ds_read_b128 a[180:183], v7 offset:46336                   // 000000005B0C: DBFEB500 B4000007
	v_mfma_f32_16x16x16_bf16 v[48:51], a[148:149], v[32:33], v[48:51]// 000000005B14: D3E10030 0CC24194
	v_mfma_f32_16x16x16_bf16 v[52:55], a[150:151], v[32:33], v[52:55]// 000000005B1C: D3E10034 0CD24196
	v_mfma_f32_16x16x16_bf16 v[56:59], a[152:153], v[32:33], v[56:59]// 000000005B24: D3E10038 0CE24198
	v_mfma_f32_16x16x16_bf16 v[60:63], a[154:155], v[32:33], v[60:63]// 000000005B2C: D3E1003C 0CF2419A
	ds_read_b128 a[184:187], v7 offset:47360                   // 000000005B34: DBFEB900 B8000007
	ds_read_b128 a[188:191], v7 offset:48384                   // 000000005B3C: DBFEBD00 BC000007
	v_mfma_f32_16x16x16_bf16 v[64:67], a[156:157], v[32:33], v[64:67]// 000000005B44: D3E10040 0D02419C
	v_mfma_f32_16x16x16_bf16 v[68:71], a[158:159], v[32:33], v[68:71]// 000000005B4C: D3E10044 0D12419E
	v_mfma_f32_16x16x16_bf16 v[72:75], a[160:161], v[32:33], v[72:75]// 000000005B54: D3E10048 0D2241A0
	v_mfma_f32_16x16x16_bf16 v[76:79], a[162:163], v[32:33], v[76:79]// 000000005B5C: D3E1004C 0D3241A2
	ds_read_b128 a[192:195], v7 offset:49408                   // 000000005B64: DBFEC100 C0000007
	ds_read_b128 a[196:199], v7 offset:50432                   // 000000005B6C: DBFEC500 C4000007
	v_mfma_f32_16x16x16_bf16 v[80:83], a[164:165], v[32:33], v[80:83]// 000000005B74: D3E10050 0D4241A4
	v_mfma_f32_16x16x16_bf16 v[84:87], a[166:167], v[32:33], v[84:87]// 000000005B7C: D3E10054 0D5241A6
	v_mfma_f32_16x16x16_bf16 v[88:91], a[168:169], v[32:33], v[88:91]// 000000005B84: D3E10058 0D6241A8
	v_mfma_f32_16x16x16_bf16 v[92:95], a[170:171], v[32:33], v[92:95]// 000000005B8C: D3E1005C 0D7241AA
	ds_read_b128 a[200:203], v7 offset:51456                   // 000000005B94: DBFEC900 C8000007
	ds_read_b128 a[204:207], v7 offset:52480                   // 000000005B9C: DBFECD00 CC000007
	v_mfma_f32_16x16x16_bf16 v[96:99], a[172:173], v[32:33], v[96:99]// 000000005BA4: D3E10060 0D8241AC
	v_mfma_f32_16x16x16_bf16 v[100:103], a[174:175], v[32:33], v[100:103]// 000000005BAC: D3E10064 0D9241AE
	s_waitcnt lgkmcnt(4)                                       // 000000005BB4: BF8CC47F
	v_mfma_f32_16x16x16_bf16 v[104:107], a[176:177], v[32:33], v[104:107]// 000000005BB8: D3E10068 0DA241B0
	v_mfma_f32_16x16x16_bf16 v[108:111], a[178:179], v[32:33], v[108:111]// 000000005BC0: D3E1006C 0DB241B2
	v_mfma_f32_16x16x16_bf16 v[112:115], a[180:181], v[32:33], v[112:115]// 000000005BC8: D3E10070 0DC241B4
	s_waitcnt vmcnt(18) lgkmcnt(0)                             // 000000005BD0: BF8C4072
	s_barrier                                                  // 000000005BD4: BF8A0000
	v_mfma_f32_16x16x16_bf16 v[116:119], a[182:183], v[32:33], v[116:119]// 000000005BD8: D3E10074 0DD241B6
	ds_read_b64 v[20:21], v5                                   // 000000005BE0: D8EC0000 14000005
	ds_read_b64 v[22:23], v5 offset:4640                       // 000000005BE8: D8EC1220 16000005
	v_mfma_f32_16x16x16_bf16 v[120:123], a[184:185], v[32:33], v[120:123]// 000000005BF0: D3E10078 0DE241B8
	ds_read_b64 v[24:25], v5 offset:9280                       // 000000005BF8: D8EC2440 18000005
	ds_read_b64 v[26:27], v5 offset:13920                      // 000000005C00: D8EC3660 1A000005
	v_mfma_f32_16x16x16_bf16 v[124:127], a[186:187], v[32:33], v[124:127]// 000000005C08: D3E1007C 0DF241BA
	ds_read_b128 a[144:147], v4                                // 000000005C10: DBFE0000 90000004
	v_mfma_f32_16x16x16_bf16 v[128:131], a[188:189], v[32:33], v[128:131]// 000000005C18: D3E10080 0E0241BC
	ds_read_b128 a[148:151], v4 offset:64                      // 000000005C20: DBFE0040 94000004
	v_mfma_f32_16x16x16_bf16 v[132:135], a[190:191], v[32:33], v[132:135]// 000000005C28: D3E10084 0E1241BE
	ds_read_b128 a[152:155], v4 offset:256                     // 000000005C30: DBFE0100 98000004
	v_mfma_f32_16x16x16_bf16 v[136:139], a[192:193], v[32:33], v[136:139]// 000000005C38: D3E10088 0E2241C0
	ds_read_b128 a[156:159], v4 offset:320                     // 000000005C40: DBFE0140 9C000004
	v_mfma_f32_16x16x16_bf16 v[140:143], a[194:195], v[32:33], v[140:143]// 000000005C48: D3E1008C 0E3241C2
	ds_read_b128 a[160:163], v4 offset:512                     // 000000005C50: DBFE0200 A0000004
	v_mfma_f32_16x16x16_bf16 v[144:147], a[196:197], v[32:33], v[144:147]// 000000005C58: D3E10090 0E4241C4
	ds_read_b128 a[164:167], v4 offset:576                     // 000000005C60: DBFE0240 A4000004
	v_mfma_f32_16x16x16_bf16 v[148:151], a[198:199], v[32:33], v[148:151]// 000000005C68: D3E10094 0E5241C6
	ds_read_b128 a[168:171], v4 offset:768                     // 000000005C70: DBFE0300 A8000004
	v_mfma_f32_16x16x16_bf16 v[152:155], a[200:201], v[32:33], v[152:155]// 000000005C78: D3E10098 0E6241C8
	ds_read_b128 a[172:175], v4 offset:832                     // 000000005C80: DBFE0340 AC000004
	v_mfma_f32_16x16x16_bf16 v[156:159], a[202:203], v[32:33], v[156:159]// 000000005C88: D3E1009C 0E7241CA
	s_waitcnt lgkmcnt(8)                                       // 000000005C90: BF8CC87F
	v_perm_b32 v168, v22, v20, s53                             // 000000005C94: D1ED00A8 00D62916
	v_perm_b32 v170, v22, v20, s52                             // 000000005C9C: D1ED00AA 00D22916
	v_perm_b32 v169, v26, v24, s53                             // 000000005CA4: D1ED00A9 00D6311A
	v_perm_b32 v171, v26, v24, s52                             // 000000005CAC: D1ED00AB 00D2311A
	v_mfma_f32_16x16x16_bf16 v[160:163], a[204:205], v[32:33], v[160:163]// 000000005CB4: D3E100A0 0E8241CC
	ds_write_b128 v6, v[168:171] offset:37120                  // 000000005CBC: D9BE9100 0000A806
	v_perm_b32 v168, v23, v21, s53                             // 000000005CC4: D1ED00A8 00D62B17
	v_perm_b32 v170, v23, v21, s52                             // 000000005CCC: D1ED00AA 00D22B17
	v_perm_b32 v169, v27, v25, s53                             // 000000005CD4: D1ED00A9 00D6331B
	v_perm_b32 v171, v27, v25, s52                             // 000000005CDC: D1ED00AB 00D2331B
	v_mfma_f32_16x16x16_bf16 v[164:167], a[206:207], v[32:33], v[164:167]// 000000005CE4: D3E100A4 0E9241CE
	ds_write_b128 v6, v[168:171] offset:38144                  // 000000005CEC: D9BE9500 0000A806
	ds_read_b64 v[20:21], v5 offset:1024                       // 000000005CF4: D8EC0400 14000005
	ds_read_b64 v[22:23], v5 offset:5664                       // 000000005CFC: D8EC1620 16000005
	ds_read_b64 v[24:25], v5 offset:10304                      // 000000005D04: D8EC2840 18000005
	ds_read_b64 v[26:27], v5 offset:14944                      // 000000005D0C: D8EC3A60 1A000005
	s_nop 0                                                    // 000000005D14: BF800000
	s_addk_i32 s70, 0x1                                        // 000000005D18: B7460001
	s_cmp_lt_i32 s70, s71                                      // 000000005D1C: BF044746
	s_cbranch_scc0 label_24F8                                  // 000000005D20: BF84FB35
	s_branch label_2504                                        // 000000005D24: BF82FB37

0000000000005d28 <label_3828>:
	s_cmp_eq_i32 s48, 0                                        // 000000005D28: BF008030
	s_cbranch_scc1 label_482C                                  // 000000005D2C: BF8503FF

0000000000005d30 <label_3830>:
	s_and_b32 s56, s71, 1                                      // 000000005D30: 86388147
	s_cmp_eq_i32 s56, 1                                        // 000000005D34: BF008138
	s_cbranch_scc1 label_4034                                  // 000000005D38: BF8501FE
	s_waitcnt lgkmcnt(4)                                       // 000000005D3C: BF8CC47F
	v_mfma_f32_16x16x16_bf16 v[32:35], a[144:145], a[0:1], 0   // 000000005D40: D3E10020 1A020190
	ds_read_b128 a[176:179], v4 offset:1024                    // 000000005D48: DBFE0400 B0000004
	ds_read_b128 a[180:183], v4 offset:1088                    // 000000005D50: DBFE0440 B4000004
	v_mfma_f32_16x16x16_bf16 v[32:35], a[146:147], a[2:3], v[32:35]// 000000005D58: D3E10020 1C820592
	v_mfma_f32_16x16x16_bf16 v[32:35], a[148:149], a[4:5], v[32:35]// 000000005D60: D3E10020 1C820994
	v_mfma_f32_16x16x16_bf16 v[32:35], a[150:151], a[6:7], v[32:35]// 000000005D68: D3E10020 1C820D96
	v_mfma_f32_16x16x16_bf16 v[32:35], a[152:153], a[8:9], v[32:35]// 000000005D70: D3E10020 1C821198
	ds_read_b128 a[184:187], v4 offset:1280                    // 000000005D78: DBFE0500 B8000004
	ds_read_b128 a[188:191], v4 offset:1344                    // 000000005D80: DBFE0540 BC000004
	v_mfma_f32_16x16x16_bf16 v[32:35], a[154:155], a[10:11], v[32:35]// 000000005D88: D3E10020 1C82159A
	v_mfma_f32_16x16x16_bf16 v[32:35], a[156:157], a[12:13], v[32:35]// 000000005D90: D3E10020 1C82199C
	v_mfma_f32_16x16x16_bf16 v[32:35], a[158:159], a[14:15], v[32:35]// 000000005D98: D3E10020 1C821D9E
	s_waitcnt lgkmcnt(4)                                       // 000000005DA0: BF8CC47F
	v_mfma_f32_16x16x16_bf16 v[32:35], a[160:161], a[16:17], v[32:35]// 000000005DA4: D3E10020 1C8221A0
	ds_read_b128 a[192:195], v4 offset:1536                    // 000000005DAC: DBFE0600 C0000004
	ds_read_b128 a[196:199], v4 offset:1600                    // 000000005DB4: DBFE0640 C4000004
	v_mfma_f32_16x16x16_bf16 v[32:35], a[162:163], a[18:19], v[32:35]// 000000005DBC: D3E10020 1C8225A2
	v_mfma_f32_16x16x16_bf16 v[32:35], a[164:165], a[20:21], v[32:35]// 000000005DC4: D3E10020 1C8229A4
	v_mfma_f32_16x16x16_bf16 v[32:35], a[166:167], a[22:23], v[32:35]// 000000005DCC: D3E10020 1C822DA6
	v_mfma_f32_16x16x16_bf16 v[32:35], a[168:169], a[24:25], v[32:35]// 000000005DD4: D3E10020 1C8231A8
	ds_read_b128 a[200:203], v4 offset:1792                    // 000000005DDC: DBFE0700 C8000004
	ds_read_b128 a[204:207], v4 offset:1856                    // 000000005DE4: DBFE0740 CC000004
	v_mfma_f32_16x16x16_bf16 v[32:35], a[170:171], a[26:27], v[32:35]// 000000005DEC: D3E10020 1C8235AA
	v_mfma_f32_16x16x16_bf16 v[32:35], a[172:173], a[28:29], v[32:35]// 000000005DF4: D3E10020 1C8239AC
	v_mfma_f32_16x16x16_bf16 v[32:35], a[174:175], a[30:31], v[32:35]// 000000005DFC: D3E10020 1C823DAE
	s_waitcnt lgkmcnt(4)                                       // 000000005E04: BF8CC47F
	s_barrier                                                  // 000000005E08: BF8A0000
	v_mfma_f32_16x16x16_bf16 v[32:35], a[176:177], a[32:33], v[32:35]// 000000005E0C: D3E10020 1C8241B0
	ds_read_b128 a[208:211], v4 offset:2048                    // 000000005E14: DBFE0800 D0000004
	ds_read_b128 a[212:215], v4 offset:2112                    // 000000005E1C: DBFE0840 D4000004
	v_mfma_f32_16x16x16_bf16 v[32:35], a[178:179], a[34:35], v[32:35]// 000000005E24: D3E10020 1C8245B2
	v_mfma_f32_16x16x16_bf16 v[32:35], a[180:181], a[36:37], v[32:35]// 000000005E2C: D3E10020 1C8249B4
	v_perm_b32 v168, v22, v20, s53                             // 000000005E34: D1ED00A8 00D62916
	v_perm_b32 v170, v22, v20, s52                             // 000000005E3C: D1ED00AA 00D22916
	v_perm_b32 v169, v26, v24, s53                             // 000000005E44: D1ED00A9 00D6311A
	v_perm_b32 v171, v26, v24, s52                             // 000000005E4C: D1ED00AB 00D2311A
	v_mfma_f32_16x16x16_bf16 v[32:35], a[182:183], a[38:39], v[32:35]// 000000005E54: D3E10020 1C824DB6
	v_mfma_f32_16x16x16_bf16 v[32:35], a[184:185], a[40:41], v[32:35]// 000000005E5C: D3E10020 1C8251B8
	ds_write_b128 v6, v[168:171] offset:45312                  // 000000005E64: D9BEB100 0000A806
	v_mfma_f32_16x16x16_bf16 v[32:35], a[186:187], a[42:43], v[32:35]// 000000005E6C: D3E10020 1C8255BA
	v_mfma_f32_16x16x16_bf16 v[32:35], a[188:189], a[44:45], v[32:35]// 000000005E74: D3E10020 1C8259BC
	v_perm_b32 v168, v23, v21, s53                             // 000000005E7C: D1ED00A8 00D62B17
	v_perm_b32 v170, v23, v21, s52                             // 000000005E84: D1ED00AA 00D22B17
	v_perm_b32 v169, v27, v25, s53                             // 000000005E8C: D1ED00A9 00D6331B
	v_perm_b32 v171, v27, v25, s52                             // 000000005E94: D1ED00AB 00D2331B
	v_mfma_f32_16x16x16_bf16 v[32:35], a[190:191], a[46:47], v[32:35]// 000000005E9C: D3E10020 1C825DBE
	s_waitcnt lgkmcnt(1)                                       // 000000005EA4: BF8CC17F
	v_mfma_f32_16x16x16_bf16 v[32:35], a[192:193], a[48:49], v[32:35]// 000000005EA8: D3E10020 1C8261C0
	ds_write_b128 v6, v[168:171] offset:46336                  // 000000005EB0: D9BEB500 0000A806
	v_mfma_f32_16x16x16_bf16 v[32:35], a[194:195], a[50:51], v[32:35]// 000000005EB8: D3E10020 1C8265C2
	v_mfma_f32_16x16x16_bf16 v[32:35], a[196:197], a[52:53], v[32:35]// 000000005EC0: D3E10020 1C8269C4
	v_mfma_f32_16x16x16_bf16 v[32:35], a[198:199], a[54:55], v[32:35]// 000000005EC8: D3E10020 1C826DC6
	v_mfma_f32_16x16x16_bf16 v[32:35], a[200:201], a[56:57], v[32:35]// 000000005ED0: D3E10020 1C8271C8
	v_mfma_f32_16x16x16_bf16 v[32:35], a[202:203], a[58:59], v[32:35]// 000000005ED8: D3E10020 1C8275CA
	v_mfma_f32_16x16x16_bf16 v[32:35], a[204:205], a[60:61], v[32:35]// 000000005EE0: D3E10020 1C8279CC
	v_mfma_f32_16x16x16_bf16 v[32:35], a[206:207], a[62:63], v[32:35]// 000000005EE8: D3E10020 1C827DCE
	v_mfma_f32_16x16x16_bf16 v[32:35], a[208:209], a[64:65], v[32:35]// 000000005EF0: D3E10020 1C8281D0
	v_mfma_f32_16x16x16_bf16 v[32:35], a[210:211], a[66:67], v[32:35]// 000000005EF8: D3E10020 1C8285D2
	v_mfma_f32_16x16x16_bf16 v[32:35], a[212:213], a[68:69], v[32:35]// 000000005F00: D3E10020 1C8289D4
	v_mfma_f32_16x16x16_bf16 v[32:35], a[214:215], a[70:71], v[32:35]// 000000005F08: D3E10020 1C828DD6
	s_cmp_le_i32 s83, s82                                      // 000000005F10: BF055253
	s_cbranch_scc1 label_3AA8                                  // 000000005F14: BF850024
	v_mov_b32_e32 v25, 0xff800000                              // 000000005F18: 7E3202FF FF800000
	s_add_u32 s57, s82, 0                                      // 000000005F20: 80398052
	v_mov_b32_e32 v24, s57                                     // 000000005F24: 7E300239
	v_add_u32_e32 v24, s7, v24                                 // 000000005F28: 68303007
	s_sub_u32 s56, s83, 15                                     // 000000005F2C: 80B88F53
	v_lshrrev_b32_e32 v20, 4, v0                               // 000000005F30: 20280084
	v_mul_i32_i24_e32 v20, 4, v20                              // 000000005F34: 0C282884
	v_add_u32_e32 v20, s56, v20                                // 000000005F38: 68282838
	v_add_u32_e32 v21, 1, v20                                  // 000000005F3C: 682A2881
	v_add_u32_e32 v22, 2, v20                                  // 000000005F40: 682C2882
	v_add_u32_e32 v23, 3, v20                                  // 000000005F44: 682E2883
	v_cmp_le_u32_e64 s[38:39], v20, v24                        // 000000005F48: D0CB0026 00023114
	v_add_u32_e32 v20, 64, v20                                 // 000000005F50: 682828C0
	s_nop 0                                                    // 000000005F54: BF800000
	v_cndmask_b32_e64 v32, v25, v32, s[38:39]                  // 000000005F58: D1000020 009A4119
	v_cmp_le_u32_e64 s[38:39], v21, v24                        // 000000005F60: D0CB0026 00023115
	v_add_u32_e32 v21, 64, v21                                 // 000000005F68: 682A2AC0
	s_nop 0                                                    // 000000005F6C: BF800000
	v_cndmask_b32_e64 v33, v25, v33, s[38:39]                  // 000000005F70: D1000021 009A4319
	v_cmp_le_u32_e64 s[38:39], v22, v24                        // 000000005F78: D0CB0026 00023116
	v_add_u32_e32 v22, 64, v22                                 // 000000005F80: 682C2CC0
	s_nop 0                                                    // 000000005F84: BF800000
	v_cndmask_b32_e64 v34, v25, v34, s[38:39]                  // 000000005F88: D1000022 009A4519
	v_cmp_le_u32_e64 s[38:39], v23, v24                        // 000000005F90: D0CB0026 00023117
	v_add_u32_e32 v23, 64, v23                                 // 000000005F98: 682E2EC0
	s_nop 0                                                    // 000000005F9C: BF800000
	v_cndmask_b32_e64 v35, v25, v35, s[38:39]                  // 000000005FA0: D1000023 009A4719

0000000000005fa8 <label_3AA8>:
	s_waitcnt lgkmcnt(0)                                       // 000000005FA8: BF8CC07F
	s_barrier                                                  // 000000005FAC: BF8A0000
	v_mov_b32_e32 v25, 0xff800000                              // 000000005FB0: 7E3202FF FF800000
	s_and_b32 s56, s48, 0xff                                   // 000000005FB8: 8638FF30 000000FF
	v_mov_b32_e32 v24, s56                                     // 000000005FC0: 7E300238
	v_lshrrev_b32_e32 v20, 4, v0                               // 000000005FC4: 20280084
	v_mul_i32_i24_e32 v20, 4, v20                              // 000000005FC8: 0C282884
	v_add_u32_e32 v21, 1, v20                                  // 000000005FCC: 682A2881
	v_add_u32_e32 v22, 2, v20                                  // 000000005FD0: 682C2882
	v_add_u32_e32 v23, 3, v20                                  // 000000005FD4: 682E2883
	v_cmp_lt_u32_e64 s[38:39], v20, v24                        // 000000005FD8: D0C90026 00023114
	v_add_u32_e32 v20, 64, v20                                 // 000000005FE0: 682828C0
	s_nop 0                                                    // 000000005FE4: BF800000
	v_cndmask_b32_e64 v32, v25, v32, s[38:39]                  // 000000005FE8: D1000020 009A4119
	v_cmp_lt_u32_e64 s[38:39], v21, v24                        // 000000005FF0: D0C90026 00023115
	v_add_u32_e32 v21, 64, v21                                 // 000000005FF8: 682A2AC0
	s_nop 0                                                    // 000000005FFC: BF800000
	v_cndmask_b32_e64 v33, v25, v33, s[38:39]                  // 000000006000: D1000021 009A4319
	v_cmp_lt_u32_e64 s[38:39], v22, v24                        // 000000006008: D0C90026 00023116
	v_add_u32_e32 v22, 64, v22                                 // 000000006010: 682C2CC0
	s_nop 0                                                    // 000000006014: BF800000
	v_cndmask_b32_e64 v34, v25, v34, s[38:39]                  // 000000006018: D1000022 009A4519
	v_cmp_lt_u32_e64 s[38:39], v23, v24                        // 000000006020: D0C90026 00023117
	v_add_u32_e32 v23, 64, v23                                 // 000000006028: 682E2EC0
	s_nop 0                                                    // 00000000602C: BF800000
	v_cndmask_b32_e64 v35, v25, v35, s[38:39]                  // 000000006030: D1000023 009A4719
	v_max3_f32 v24, v32, v33, v32                              // 000000006038: D1D30018 04824320
	v_max3_f32 v24, v34, v35, v24                              // 000000006040: D1D30018 04624722
	ds_write_b32 v3, v24 offset:53504                          // 000000006048: D81AD100 00001803
	s_waitcnt lgkmcnt(0)                                       // 000000006050: BF8CC07F
	ds_read_b32 v20, v2 offset:53504                           // 000000006054: D86CD100 14000002
	ds_read_b32 v21, v2 offset:53568                           // 00000000605C: D86CD140 15000002
	ds_read_b32 v22, v2 offset:53632                           // 000000006064: D86CD180 16000002
	ds_read_b32 v23, v2 offset:53696                           // 00000000606C: D86CD1C0 17000002
	s_waitcnt lgkmcnt(0)                                       // 000000006074: BF8CC07F
	v_max3_f32 v24, v20, v21, v24                              // 000000006078: D1D30018 04622B14
	v_max3_f32 v24, v22, v23, v24                              // 000000006080: D1D30018 04622F16
	ds_read_b128 a[144:147], v7 offset:37120                   // 000000006088: DBFE9100 90000007
	ds_read_b128 a[148:151], v7 offset:38144                   // 000000006090: DBFE9500 94000007
	ds_read_b128 a[152:155], v7 offset:39168                   // 000000006098: DBFE9900 98000007
	ds_read_b128 a[156:159], v7 offset:40192                   // 0000000060A0: DBFE9D00 9C000007
	ds_read_b128 a[160:163], v7 offset:41216                   // 0000000060A8: DBFEA100 A0000007
	ds_read_b128 a[164:167], v7 offset:42240                   // 0000000060B0: DBFEA500 A4000007
	ds_read_b128 a[168:171], v7 offset:43264                   // 0000000060B8: DBFEA900 A8000007
	ds_read_b128 a[172:175], v7 offset:44288                   // 0000000060C0: DBFEAD00 AC000007
	v_mov_b32_e32 v25, 0xff7fffff                              // 0000000060C8: 7E3202FF FF7FFFFF
	v_cmp_eq_u32_e64 s[38:39], v25, v12                        // 0000000060D0: D0CA0026 00021919
	v_max_f32_e32 v20, v24, v12                                // 0000000060D8: 16281918
	v_sub_f32_e32 v16, v12, v20                                // 0000000060DC: 0420290C
	v_cndmask_b32_e64 v16, v16, 0, s[38:39]                    // 0000000060E0: D1000010 00990110
	v_mov_b32_e32 v12, v20                                     // 0000000060E8: 7E180314
	v_mul_f32_e32 v21, s5, v20                                 // 0000000060EC: 0A2A2805
	v_mul_f32_e32 v16, s5, v16                                 // 0000000060F0: 0A202005
	v_exp_f32_e32 v16, v16                                     // 0000000060F4: 7E204110
	v_fma_f32 v32, v32, s5, -v21                               // 0000000060F8: D1CB0020 84540B20
	v_fma_f32 v33, v33, s5, -v21                               // 000000006100: D1CB0021 84540B21
	v_fma_f32 v34, v34, s5, -v21                               // 000000006108: D1CB0022 84540B22
	v_fma_f32 v35, v35, s5, -v21                               // 000000006110: D1CB0023 84540B23
	v_exp_f32_e32 v32, v32                                     // 000000006118: 7E404120
	v_exp_f32_e32 v33, v33                                     // 00000000611C: 7E424121
	v_exp_f32_e32 v34, v34                                     // 000000006120: 7E444122
	v_exp_f32_e32 v35, v35                                     // 000000006124: 7E464123
	v_mul_f32_e32 v14, v16, v14                                // 000000006128: 0A1C1D10
	v_mov_b32_e32 v22, v32                                     // 00000000612C: 7E2C0320
	v_add_f32_e32 v22, v33, v22                                // 000000006130: 022C2D21
	v_add_f32_e32 v22, v34, v22                                // 000000006134: 022C2D22
	v_add_f32_e32 v22, v35, v22                                // 000000006138: 022C2D23
	v_add_f32_e32 v14, v22, v14                                // 00000000613C: 021C1D16
	v_mov_b32_e32 v29, 0xffff0000                              // 000000006140: 7E3A02FF FFFF0000
	v_mov_b32_e32 v30, 0x7fff0000                              // 000000006148: 7E3C02FF 7FFF0000
	v_mov_b32_e32 v31, 0x7fff                                  // 000000006150: 7E3E02FF 00007FFF
	v_cmp_u_f32_e64 s[38:39], v32, v32                         // 000000006158: D0480026 00024120
	v_add3_u32 v28, v32, v31, 1                                // 000000006160: D1FF001C 02063F20
	v_cndmask_b32_e64 v20, v28, v30, s[38:39]                  // 000000006168: D1000014 009A3D1C
	v_cmp_u_f32_e64 s[38:39], v33, v33                         // 000000006170: D0480026 00024321
	v_add3_u32 v28, v33, v31, 1                                // 000000006178: D1FF001C 02063F21
	v_cndmask_b32_e64 v21, v28, v30, s[38:39]                  // 000000006180: D1000015 009A3D1C
	v_perm_b32 v32, v21, v20, s52                              // 000000006188: D1ED0020 00D22915
	v_cmp_u_f32_e64 s[38:39], v34, v34                         // 000000006190: D0480026 00024522
	v_add3_u32 v28, v34, v31, 1                                // 000000006198: D1FF001C 02063F22
	v_cndmask_b32_e64 v20, v28, v30, s[38:39]                  // 0000000061A0: D1000014 009A3D1C
	v_cmp_u_f32_e64 s[38:39], v35, v35                         // 0000000061A8: D0480026 00024723
	v_add3_u32 v28, v35, v31, 1                                // 0000000061B0: D1FF001C 02063F23
	v_cndmask_b32_e64 v21, v28, v30, s[38:39]                  // 0000000061B8: D1000015 009A3D1C
	v_perm_b32 v33, v21, v20, s52                              // 0000000061C0: D1ED0021 00D22915
	s_nop 2                                                    // 0000000061C8: BF800002
	s_add_u32 s83, s84, s83                                    // 0000000061CC: 80535354
	s_nop 0                                                    // 0000000061D0: BF800000
	v_mov_b32_e32 v22, v16                                     // 0000000061D4: 7E2C0310
	v_mov_b32_e32 v23, v16                                     // 0000000061D8: 7E2E0310
	v_pk_mul_f32 v[40:41], v[22:23], v[40:41]                  // 0000000061DC: D3B14028 18025116
	v_pk_mul_f32 v[42:43], v[22:23], v[42:43]                  // 0000000061E4: D3B1402A 18025516
	v_pk_mul_f32 v[44:45], v[22:23], v[44:45]                  // 0000000061EC: D3B1402C 18025916
	v_pk_mul_f32 v[46:47], v[22:23], v[46:47]                  // 0000000061F4: D3B1402E 18025D16
	v_pk_mul_f32 v[48:49], v[22:23], v[48:49]                  // 0000000061FC: D3B14030 18026116
	v_pk_mul_f32 v[50:51], v[22:23], v[50:51]                  // 000000006204: D3B14032 18026516
	v_pk_mul_f32 v[52:53], v[22:23], v[52:53]                  // 00000000620C: D3B14034 18026916
	v_pk_mul_f32 v[54:55], v[22:23], v[54:55]                  // 000000006214: D3B14036 18026D16
	v_pk_mul_f32 v[56:57], v[22:23], v[56:57]                  // 00000000621C: D3B14038 18027116
	v_pk_mul_f32 v[58:59], v[22:23], v[58:59]                  // 000000006224: D3B1403A 18027516
	v_pk_mul_f32 v[60:61], v[22:23], v[60:61]                  // 00000000622C: D3B1403C 18027916
	v_pk_mul_f32 v[62:63], v[22:23], v[62:63]                  // 000000006234: D3B1403E 18027D16
	v_pk_mul_f32 v[64:65], v[22:23], v[64:65]                  // 00000000623C: D3B14040 18028116
	v_pk_mul_f32 v[66:67], v[22:23], v[66:67]                  // 000000006244: D3B14042 18028516
	v_pk_mul_f32 v[68:69], v[22:23], v[68:69]                  // 00000000624C: D3B14044 18028916
	v_pk_mul_f32 v[70:71], v[22:23], v[70:71]                  // 000000006254: D3B14046 18028D16
	v_pk_mul_f32 v[72:73], v[22:23], v[72:73]                  // 00000000625C: D3B14048 18029116
	v_pk_mul_f32 v[74:75], v[22:23], v[74:75]                  // 000000006264: D3B1404A 18029516
	v_pk_mul_f32 v[76:77], v[22:23], v[76:77]                  // 00000000626C: D3B1404C 18029916
	v_pk_mul_f32 v[78:79], v[22:23], v[78:79]                  // 000000006274: D3B1404E 18029D16
	v_pk_mul_f32 v[80:81], v[22:23], v[80:81]                  // 00000000627C: D3B14050 1802A116
	v_pk_mul_f32 v[82:83], v[22:23], v[82:83]                  // 000000006284: D3B14052 1802A516
	v_pk_mul_f32 v[84:85], v[22:23], v[84:85]                  // 00000000628C: D3B14054 1802A916
	v_pk_mul_f32 v[86:87], v[22:23], v[86:87]                  // 000000006294: D3B14056 1802AD16
	v_pk_mul_f32 v[88:89], v[22:23], v[88:89]                  // 00000000629C: D3B14058 1802B116
	v_pk_mul_f32 v[90:91], v[22:23], v[90:91]                  // 0000000062A4: D3B1405A 1802B516
	v_pk_mul_f32 v[92:93], v[22:23], v[92:93]                  // 0000000062AC: D3B1405C 1802B916
	v_pk_mul_f32 v[94:95], v[22:23], v[94:95]                  // 0000000062B4: D3B1405E 1802BD16
	v_pk_mul_f32 v[96:97], v[22:23], v[96:97]                  // 0000000062BC: D3B14060 1802C116
	v_pk_mul_f32 v[98:99], v[22:23], v[98:99]                  // 0000000062C4: D3B14062 1802C516
	v_pk_mul_f32 v[100:101], v[22:23], v[100:101]              // 0000000062CC: D3B14064 1802C916
	v_pk_mul_f32 v[102:103], v[22:23], v[102:103]              // 0000000062D4: D3B14066 1802CD16
	v_pk_mul_f32 v[104:105], v[22:23], v[104:105]              // 0000000062DC: D3B14068 1802D116
	v_pk_mul_f32 v[106:107], v[22:23], v[106:107]              // 0000000062E4: D3B1406A 1802D516
	v_pk_mul_f32 v[108:109], v[22:23], v[108:109]              // 0000000062EC: D3B1406C 1802D916
	v_pk_mul_f32 v[110:111], v[22:23], v[110:111]              // 0000000062F4: D3B1406E 1802DD16
	v_pk_mul_f32 v[112:113], v[22:23], v[112:113]              // 0000000062FC: D3B14070 1802E116
	v_pk_mul_f32 v[114:115], v[22:23], v[114:115]              // 000000006304: D3B14072 1802E516
	v_pk_mul_f32 v[116:117], v[22:23], v[116:117]              // 00000000630C: D3B14074 1802E916
	v_pk_mul_f32 v[118:119], v[22:23], v[118:119]              // 000000006314: D3B14076 1802ED16
	v_pk_mul_f32 v[120:121], v[22:23], v[120:121]              // 00000000631C: D3B14078 1802F116
	v_pk_mul_f32 v[122:123], v[22:23], v[122:123]              // 000000006324: D3B1407A 1802F516
	v_pk_mul_f32 v[124:125], v[22:23], v[124:125]              // 00000000632C: D3B1407C 1802F916
	v_pk_mul_f32 v[126:127], v[22:23], v[126:127]              // 000000006334: D3B1407E 1802FD16
	v_pk_mul_f32 v[128:129], v[22:23], v[128:129]              // 00000000633C: D3B14080 18030116
	v_pk_mul_f32 v[130:131], v[22:23], v[130:131]              // 000000006344: D3B14082 18030516
	v_pk_mul_f32 v[132:133], v[22:23], v[132:133]              // 00000000634C: D3B14084 18030916
	v_pk_mul_f32 v[134:135], v[22:23], v[134:135]              // 000000006354: D3B14086 18030D16
	v_pk_mul_f32 v[136:137], v[22:23], v[136:137]              // 00000000635C: D3B14088 18031116
	v_pk_mul_f32 v[138:139], v[22:23], v[138:139]              // 000000006364: D3B1408A 18031516
	v_pk_mul_f32 v[140:141], v[22:23], v[140:141]              // 00000000636C: D3B1408C 18031916
	v_pk_mul_f32 v[142:143], v[22:23], v[142:143]              // 000000006374: D3B1408E 18031D16
	v_pk_mul_f32 v[144:145], v[22:23], v[144:145]              // 00000000637C: D3B14090 18032116
	v_pk_mul_f32 v[146:147], v[22:23], v[146:147]              // 000000006384: D3B14092 18032516
	v_pk_mul_f32 v[148:149], v[22:23], v[148:149]              // 00000000638C: D3B14094 18032916
	v_pk_mul_f32 v[150:151], v[22:23], v[150:151]              // 000000006394: D3B14096 18032D16
	v_pk_mul_f32 v[152:153], v[22:23], v[152:153]              // 00000000639C: D3B14098 18033116
	v_pk_mul_f32 v[154:155], v[22:23], v[154:155]              // 0000000063A4: D3B1409A 18033516
	v_pk_mul_f32 v[156:157], v[22:23], v[156:157]              // 0000000063AC: D3B1409C 18033916
	v_pk_mul_f32 v[158:159], v[22:23], v[158:159]              // 0000000063B4: D3B1409E 18033D16
	v_pk_mul_f32 v[160:161], v[22:23], v[160:161]              // 0000000063BC: D3B140A0 18034116
	v_pk_mul_f32 v[162:163], v[22:23], v[162:163]              // 0000000063C4: D3B140A2 18034516
	v_pk_mul_f32 v[164:165], v[22:23], v[164:165]              // 0000000063CC: D3B140A4 18034916
	v_pk_mul_f32 v[166:167], v[22:23], v[166:167]              // 0000000063D4: D3B140A6 18034D16
	s_waitcnt lgkmcnt(0)                                       // 0000000063DC: BF8CC07F
	v_mfma_f32_16x16x16_bf16 v[40:43], a[144:145], v[32:33], v[40:43]// 0000000063E0: D3E10028 0CA24190
	ds_read_b128 a[176:179], v7 offset:45312                   // 0000000063E8: DBFEB100 B0000007
	ds_read_b128 a[180:183], v7 offset:46336                   // 0000000063F0: DBFEB500 B4000007
	v_mfma_f32_16x16x16_bf16 v[44:47], a[146:147], v[32:33], v[44:47]// 0000000063F8: D3E1002C 0CB24192
	v_mfma_f32_16x16x16_bf16 v[48:51], a[148:149], v[32:33], v[48:51]// 000000006400: D3E10030 0CC24194
	v_mfma_f32_16x16x16_bf16 v[52:55], a[150:151], v[32:33], v[52:55]// 000000006408: D3E10034 0CD24196
	v_mfma_f32_16x16x16_bf16 v[56:59], a[152:153], v[32:33], v[56:59]// 000000006410: D3E10038 0CE24198
	ds_read_b128 a[184:187], v7 offset:47360                   // 000000006418: DBFEB900 B8000007
	ds_read_b128 a[188:191], v7 offset:48384                   // 000000006420: DBFEBD00 BC000007
	v_mfma_f32_16x16x16_bf16 v[60:63], a[154:155], v[32:33], v[60:63]// 000000006428: D3E1003C 0CF2419A
	v_mfma_f32_16x16x16_bf16 v[64:67], a[156:157], v[32:33], v[64:67]// 000000006430: D3E10040 0D02419C
	v_mfma_f32_16x16x16_bf16 v[68:71], a[158:159], v[32:33], v[68:71]// 000000006438: D3E10044 0D12419E
	v_mfma_f32_16x16x16_bf16 v[72:75], a[160:161], v[32:33], v[72:75]// 000000006440: D3E10048 0D2241A0
	ds_read_b128 a[192:195], v7 offset:49408                   // 000000006448: DBFEC100 C0000007
	ds_read_b128 a[196:199], v7 offset:50432                   // 000000006450: DBFEC500 C4000007
	v_mfma_f32_16x16x16_bf16 v[76:79], a[162:163], v[32:33], v[76:79]// 000000006458: D3E1004C 0D3241A2
	v_mfma_f32_16x16x16_bf16 v[80:83], a[164:165], v[32:33], v[80:83]// 000000006460: D3E10050 0D4241A4
	v_mfma_f32_16x16x16_bf16 v[84:87], a[166:167], v[32:33], v[84:87]// 000000006468: D3E10054 0D5241A6
	v_mfma_f32_16x16x16_bf16 v[88:91], a[168:169], v[32:33], v[88:91]// 000000006470: D3E10058 0D6241A8
	ds_read_b128 a[200:203], v7 offset:51456                   // 000000006478: DBFEC900 C8000007
	ds_read_b128 a[204:207], v7 offset:52480                   // 000000006480: DBFECD00 CC000007
	v_mfma_f32_16x16x16_bf16 v[92:95], a[170:171], v[32:33], v[92:95]// 000000006488: D3E1005C 0D7241AA
	v_mfma_f32_16x16x16_bf16 v[96:99], a[172:173], v[32:33], v[96:99]// 000000006490: D3E10060 0D8241AC
	v_mfma_f32_16x16x16_bf16 v[100:103], a[174:175], v[32:33], v[100:103]// 000000006498: D3E10064 0D9241AE
	s_waitcnt lgkmcnt(4)                                       // 0000000064A0: BF8CC47F
	v_mfma_f32_16x16x16_bf16 v[104:107], a[176:177], v[32:33], v[104:107]// 0000000064A4: D3E10068 0DA241B0
	v_mfma_f32_16x16x16_bf16 v[108:111], a[178:179], v[32:33], v[108:111]// 0000000064AC: D3E1006C 0DB241B2
	v_mfma_f32_16x16x16_bf16 v[112:115], a[180:181], v[32:33], v[112:115]// 0000000064B4: D3E10070 0DC241B4
	s_waitcnt vmcnt(18) lgkmcnt(0)                             // 0000000064BC: BF8C4072
	s_barrier                                                  // 0000000064C0: BF8A0000
	v_mfma_f32_16x16x16_bf16 v[116:119], a[182:183], v[32:33], v[116:119]// 0000000064C4: D3E10074 0DD241B6
	v_mfma_f32_16x16x16_bf16 v[120:123], a[184:185], v[32:33], v[120:123]// 0000000064CC: D3E10078 0DE241B8
	v_mfma_f32_16x16x16_bf16 v[124:127], a[186:187], v[32:33], v[124:127]// 0000000064D4: D3E1007C 0DF241BA
	v_mfma_f32_16x16x16_bf16 v[128:131], a[188:189], v[32:33], v[128:131]// 0000000064DC: D3E10080 0E0241BC
	v_mfma_f32_16x16x16_bf16 v[132:135], a[190:191], v[32:33], v[132:135]// 0000000064E4: D3E10084 0E1241BE
	v_mfma_f32_16x16x16_bf16 v[136:139], a[192:193], v[32:33], v[136:139]// 0000000064EC: D3E10088 0E2241C0
	v_mfma_f32_16x16x16_bf16 v[140:143], a[194:195], v[32:33], v[140:143]// 0000000064F4: D3E1008C 0E3241C2
	v_mfma_f32_16x16x16_bf16 v[144:147], a[196:197], v[32:33], v[144:147]// 0000000064FC: D3E10090 0E4241C4
	v_mfma_f32_16x16x16_bf16 v[148:151], a[198:199], v[32:33], v[148:151]// 000000006504: D3E10094 0E5241C6
	v_mfma_f32_16x16x16_bf16 v[152:155], a[200:201], v[32:33], v[152:155]// 00000000650C: D3E10098 0E6241C8
	v_mfma_f32_16x16x16_bf16 v[156:159], a[202:203], v[32:33], v[156:159]// 000000006514: D3E1009C 0E7241CA
	v_mfma_f32_16x16x16_bf16 v[160:163], a[204:205], v[32:33], v[160:163]// 00000000651C: D3E100A0 0E8241CC
	v_mfma_f32_16x16x16_bf16 v[164:167], a[206:207], v[32:33], v[164:167]// 000000006524: D3E100A4 0E9241CE
	s_nop 8                                                    // 00000000652C: BF800008
	s_branch label_482C                                        // 000000006530: BF8201FE

0000000000006534 <label_4034>:
	s_waitcnt lgkmcnt(4)                                       // 000000006534: BF8CC47F
	v_mfma_f32_16x16x16_bf16 v[32:35], a[144:145], a[0:1], 0   // 000000006538: D3E10020 1A020190
	ds_read_b128 a[176:179], v4 offset:19584                   // 000000006540: DBFE4C80 B0000004
	ds_read_b128 a[180:183], v4 offset:19648                   // 000000006548: DBFE4CC0 B4000004
	v_mfma_f32_16x16x16_bf16 v[32:35], a[146:147], a[2:3], v[32:35]// 000000006550: D3E10020 1C820592
	v_mfma_f32_16x16x16_bf16 v[32:35], a[148:149], a[4:5], v[32:35]// 000000006558: D3E10020 1C820994
	v_mfma_f32_16x16x16_bf16 v[32:35], a[150:151], a[6:7], v[32:35]// 000000006560: D3E10020 1C820D96
	v_mfma_f32_16x16x16_bf16 v[32:35], a[152:153], a[8:9], v[32:35]// 000000006568: D3E10020 1C821198
	ds_read_b128 a[184:187], v4 offset:19840                   // 000000006570: DBFE4D80 B8000004
	ds_read_b128 a[188:191], v4 offset:19904                   // 000000006578: DBFE4DC0 BC000004
	v_mfma_f32_16x16x16_bf16 v[32:35], a[154:155], a[10:11], v[32:35]// 000000006580: D3E10020 1C82159A
	v_mfma_f32_16x16x16_bf16 v[32:35], a[156:157], a[12:13], v[32:35]// 000000006588: D3E10020 1C82199C
	v_mfma_f32_16x16x16_bf16 v[32:35], a[158:159], a[14:15], v[32:35]// 000000006590: D3E10020 1C821D9E
	s_waitcnt lgkmcnt(4)                                       // 000000006598: BF8CC47F
	v_mfma_f32_16x16x16_bf16 v[32:35], a[160:161], a[16:17], v[32:35]// 00000000659C: D3E10020 1C8221A0
	ds_read_b128 a[192:195], v4 offset:20096                   // 0000000065A4: DBFE4E80 C0000004
	ds_read_b128 a[196:199], v4 offset:20160                   // 0000000065AC: DBFE4EC0 C4000004
	v_mfma_f32_16x16x16_bf16 v[32:35], a[162:163], a[18:19], v[32:35]// 0000000065B4: D3E10020 1C8225A2
	v_mfma_f32_16x16x16_bf16 v[32:35], a[164:165], a[20:21], v[32:35]// 0000000065BC: D3E10020 1C8229A4
	v_mfma_f32_16x16x16_bf16 v[32:35], a[166:167], a[22:23], v[32:35]// 0000000065C4: D3E10020 1C822DA6
	v_mfma_f32_16x16x16_bf16 v[32:35], a[168:169], a[24:25], v[32:35]// 0000000065CC: D3E10020 1C8231A8
	ds_read_b128 a[200:203], v4 offset:20352                   // 0000000065D4: DBFE4F80 C8000004
	ds_read_b128 a[204:207], v4 offset:20416                   // 0000000065DC: DBFE4FC0 CC000004
	v_mfma_f32_16x16x16_bf16 v[32:35], a[170:171], a[26:27], v[32:35]// 0000000065E4: D3E10020 1C8235AA
	v_mfma_f32_16x16x16_bf16 v[32:35], a[172:173], a[28:29], v[32:35]// 0000000065EC: D3E10020 1C8239AC
	v_mfma_f32_16x16x16_bf16 v[32:35], a[174:175], a[30:31], v[32:35]// 0000000065F4: D3E10020 1C823DAE
	s_waitcnt lgkmcnt(4)                                       // 0000000065FC: BF8CC47F
	s_barrier                                                  // 000000006600: BF8A0000
	v_mfma_f32_16x16x16_bf16 v[32:35], a[176:177], a[32:33], v[32:35]// 000000006604: D3E10020 1C8241B0
	ds_read_b128 a[208:211], v4 offset:20608                   // 00000000660C: DBFE5080 D0000004
	ds_read_b128 a[212:215], v4 offset:20672                   // 000000006614: DBFE50C0 D4000004
	v_mfma_f32_16x16x16_bf16 v[32:35], a[178:179], a[34:35], v[32:35]// 00000000661C: D3E10020 1C8245B2
	v_mfma_f32_16x16x16_bf16 v[32:35], a[180:181], a[36:37], v[32:35]// 000000006624: D3E10020 1C8249B4
	v_perm_b32 v168, v22, v20, s53                             // 00000000662C: D1ED00A8 00D62916
	v_perm_b32 v170, v22, v20, s52                             // 000000006634: D1ED00AA 00D22916
	v_perm_b32 v169, v26, v24, s53                             // 00000000663C: D1ED00A9 00D6311A
	v_perm_b32 v171, v26, v24, s52                             // 000000006644: D1ED00AB 00D2311A
	v_mfma_f32_16x16x16_bf16 v[32:35], a[182:183], a[38:39], v[32:35]// 00000000664C: D3E10020 1C824DB6
	v_mfma_f32_16x16x16_bf16 v[32:35], a[184:185], a[40:41], v[32:35]// 000000006654: D3E10020 1C8251B8
	ds_write_b128 v6, v[168:171] offset:45312                  // 00000000665C: D9BEB100 0000A806
	v_mfma_f32_16x16x16_bf16 v[32:35], a[186:187], a[42:43], v[32:35]// 000000006664: D3E10020 1C8255BA
	v_mfma_f32_16x16x16_bf16 v[32:35], a[188:189], a[44:45], v[32:35]// 00000000666C: D3E10020 1C8259BC
	v_perm_b32 v168, v23, v21, s53                             // 000000006674: D1ED00A8 00D62B17
	v_perm_b32 v170, v23, v21, s52                             // 00000000667C: D1ED00AA 00D22B17
	v_perm_b32 v169, v27, v25, s53                             // 000000006684: D1ED00A9 00D6331B
	v_perm_b32 v171, v27, v25, s52                             // 00000000668C: D1ED00AB 00D2331B
	v_mfma_f32_16x16x16_bf16 v[32:35], a[190:191], a[46:47], v[32:35]// 000000006694: D3E10020 1C825DBE
	s_waitcnt lgkmcnt(1)                                       // 00000000669C: BF8CC17F
	v_mfma_f32_16x16x16_bf16 v[32:35], a[192:193], a[48:49], v[32:35]// 0000000066A0: D3E10020 1C8261C0
	ds_write_b128 v6, v[168:171] offset:46336                  // 0000000066A8: D9BEB500 0000A806
	v_mfma_f32_16x16x16_bf16 v[32:35], a[194:195], a[50:51], v[32:35]// 0000000066B0: D3E10020 1C8265C2
	v_mfma_f32_16x16x16_bf16 v[32:35], a[196:197], a[52:53], v[32:35]// 0000000066B8: D3E10020 1C8269C4
	v_mfma_f32_16x16x16_bf16 v[32:35], a[198:199], a[54:55], v[32:35]// 0000000066C0: D3E10020 1C826DC6
	v_mfma_f32_16x16x16_bf16 v[32:35], a[200:201], a[56:57], v[32:35]// 0000000066C8: D3E10020 1C8271C8
	v_mfma_f32_16x16x16_bf16 v[32:35], a[202:203], a[58:59], v[32:35]// 0000000066D0: D3E10020 1C8275CA
	v_mfma_f32_16x16x16_bf16 v[32:35], a[204:205], a[60:61], v[32:35]// 0000000066D8: D3E10020 1C8279CC
	v_mfma_f32_16x16x16_bf16 v[32:35], a[206:207], a[62:63], v[32:35]// 0000000066E0: D3E10020 1C827DCE
	v_mfma_f32_16x16x16_bf16 v[32:35], a[208:209], a[64:65], v[32:35]// 0000000066E8: D3E10020 1C8281D0
	v_mfma_f32_16x16x16_bf16 v[32:35], a[210:211], a[66:67], v[32:35]// 0000000066F0: D3E10020 1C8285D2
	v_mfma_f32_16x16x16_bf16 v[32:35], a[212:213], a[68:69], v[32:35]// 0000000066F8: D3E10020 1C8289D4
	v_mfma_f32_16x16x16_bf16 v[32:35], a[214:215], a[70:71], v[32:35]// 000000006700: D3E10020 1C828DD6
	s_cmp_le_i32 s83, s82                                      // 000000006708: BF055253
	s_cbranch_scc1 label_42A0                                  // 00000000670C: BF850024
	v_mov_b32_e32 v25, 0xff800000                              // 000000006710: 7E3202FF FF800000
	s_add_u32 s57, s82, 0                                      // 000000006718: 80398052
	v_mov_b32_e32 v24, s57                                     // 00000000671C: 7E300239
	v_add_u32_e32 v24, s7, v24                                 // 000000006720: 68303007
	s_sub_u32 s56, s83, 15                                     // 000000006724: 80B88F53
	v_lshrrev_b32_e32 v20, 4, v0                               // 000000006728: 20280084
	v_mul_i32_i24_e32 v20, 4, v20                              // 00000000672C: 0C282884
	v_add_u32_e32 v20, s56, v20                                // 000000006730: 68282838
	v_add_u32_e32 v21, 1, v20                                  // 000000006734: 682A2881
	v_add_u32_e32 v22, 2, v20                                  // 000000006738: 682C2882
	v_add_u32_e32 v23, 3, v20                                  // 00000000673C: 682E2883
	v_cmp_le_u32_e64 s[38:39], v20, v24                        // 000000006740: D0CB0026 00023114
	v_add_u32_e32 v20, 64, v20                                 // 000000006748: 682828C0
	s_nop 0                                                    // 00000000674C: BF800000
	v_cndmask_b32_e64 v32, v25, v32, s[38:39]                  // 000000006750: D1000020 009A4119
	v_cmp_le_u32_e64 s[38:39], v21, v24                        // 000000006758: D0CB0026 00023115
	v_add_u32_e32 v21, 64, v21                                 // 000000006760: 682A2AC0
	s_nop 0                                                    // 000000006764: BF800000
	v_cndmask_b32_e64 v33, v25, v33, s[38:39]                  // 000000006768: D1000021 009A4319
	v_cmp_le_u32_e64 s[38:39], v22, v24                        // 000000006770: D0CB0026 00023116
	v_add_u32_e32 v22, 64, v22                                 // 000000006778: 682C2CC0
	s_nop 0                                                    // 00000000677C: BF800000
	v_cndmask_b32_e64 v34, v25, v34, s[38:39]                  // 000000006780: D1000022 009A4519
	v_cmp_le_u32_e64 s[38:39], v23, v24                        // 000000006788: D0CB0026 00023117
	v_add_u32_e32 v23, 64, v23                                 // 000000006790: 682E2EC0
	s_nop 0                                                    // 000000006794: BF800000
	v_cndmask_b32_e64 v35, v25, v35, s[38:39]                  // 000000006798: D1000023 009A4719

00000000000067a0 <label_42A0>:
	s_waitcnt lgkmcnt(0)                                       // 0000000067A0: BF8CC07F
	s_barrier                                                  // 0000000067A4: BF8A0000
	v_mov_b32_e32 v25, 0xff800000                              // 0000000067A8: 7E3202FF FF800000
	s_and_b32 s56, s48, 0xff                                   // 0000000067B0: 8638FF30 000000FF
	v_mov_b32_e32 v24, s56                                     // 0000000067B8: 7E300238
	v_lshrrev_b32_e32 v20, 4, v0                               // 0000000067BC: 20280084
	v_mul_i32_i24_e32 v20, 4, v20                              // 0000000067C0: 0C282884
	v_add_u32_e32 v21, 1, v20                                  // 0000000067C4: 682A2881
	v_add_u32_e32 v22, 2, v20                                  // 0000000067C8: 682C2882
	v_add_u32_e32 v23, 3, v20                                  // 0000000067CC: 682E2883
	v_cmp_lt_u32_e64 s[38:39], v20, v24                        // 0000000067D0: D0C90026 00023114
	v_add_u32_e32 v20, 64, v20                                 // 0000000067D8: 682828C0
	s_nop 0                                                    // 0000000067DC: BF800000
	v_cndmask_b32_e64 v32, v25, v32, s[38:39]                  // 0000000067E0: D1000020 009A4119
	v_cmp_lt_u32_e64 s[38:39], v21, v24                        // 0000000067E8: D0C90026 00023115
	v_add_u32_e32 v21, 64, v21                                 // 0000000067F0: 682A2AC0
	s_nop 0                                                    // 0000000067F4: BF800000
	v_cndmask_b32_e64 v33, v25, v33, s[38:39]                  // 0000000067F8: D1000021 009A4319
	v_cmp_lt_u32_e64 s[38:39], v22, v24                        // 000000006800: D0C90026 00023116
	v_add_u32_e32 v22, 64, v22                                 // 000000006808: 682C2CC0
	s_nop 0                                                    // 00000000680C: BF800000
	v_cndmask_b32_e64 v34, v25, v34, s[38:39]                  // 000000006810: D1000022 009A4519
	v_cmp_lt_u32_e64 s[38:39], v23, v24                        // 000000006818: D0C90026 00023117
	v_add_u32_e32 v23, 64, v23                                 // 000000006820: 682E2EC0
	s_nop 0                                                    // 000000006824: BF800000
	v_cndmask_b32_e64 v35, v25, v35, s[38:39]                  // 000000006828: D1000023 009A4719
	v_max3_f32 v24, v32, v33, v32                              // 000000006830: D1D30018 04824320
	v_max3_f32 v24, v34, v35, v24                              // 000000006838: D1D30018 04624722
	ds_write_b32 v3, v24 offset:53504                          // 000000006840: D81AD100 00001803
	s_waitcnt lgkmcnt(0)                                       // 000000006848: BF8CC07F
	ds_read_b32 v20, v2 offset:53504                           // 00000000684C: D86CD100 14000002
	ds_read_b32 v21, v2 offset:53568                           // 000000006854: D86CD140 15000002
	ds_read_b32 v22, v2 offset:53632                           // 00000000685C: D86CD180 16000002
	ds_read_b32 v23, v2 offset:53696                           // 000000006864: D86CD1C0 17000002
	s_waitcnt lgkmcnt(0)                                       // 00000000686C: BF8CC07F
	v_max3_f32 v24, v20, v21, v24                              // 000000006870: D1D30018 04622B14
	v_max3_f32 v24, v22, v23, v24                              // 000000006878: D1D30018 04622F16
	ds_read_b128 a[144:147], v7 offset:37120                   // 000000006880: DBFE9100 90000007
	ds_read_b128 a[148:151], v7 offset:38144                   // 000000006888: DBFE9500 94000007
	ds_read_b128 a[152:155], v7 offset:39168                   // 000000006890: DBFE9900 98000007
	ds_read_b128 a[156:159], v7 offset:40192                   // 000000006898: DBFE9D00 9C000007
	ds_read_b128 a[160:163], v7 offset:41216                   // 0000000068A0: DBFEA100 A0000007
	ds_read_b128 a[164:167], v7 offset:42240                   // 0000000068A8: DBFEA500 A4000007
	ds_read_b128 a[168:171], v7 offset:43264                   // 0000000068B0: DBFEA900 A8000007
	ds_read_b128 a[172:175], v7 offset:44288                   // 0000000068B8: DBFEAD00 AC000007
	v_mov_b32_e32 v25, 0xff7fffff                              // 0000000068C0: 7E3202FF FF7FFFFF
	v_cmp_eq_u32_e64 s[38:39], v25, v12                        // 0000000068C8: D0CA0026 00021919
	v_max_f32_e32 v20, v24, v12                                // 0000000068D0: 16281918
	v_sub_f32_e32 v16, v12, v20                                // 0000000068D4: 0420290C
	v_cndmask_b32_e64 v16, v16, 0, s[38:39]                    // 0000000068D8: D1000010 00990110
	v_mov_b32_e32 v12, v20                                     // 0000000068E0: 7E180314
	v_mul_f32_e32 v21, s5, v20                                 // 0000000068E4: 0A2A2805
	v_mul_f32_e32 v16, s5, v16                                 // 0000000068E8: 0A202005
	v_exp_f32_e32 v16, v16                                     // 0000000068EC: 7E204110
	v_fma_f32 v32, v32, s5, -v21                               // 0000000068F0: D1CB0020 84540B20
	v_fma_f32 v33, v33, s5, -v21                               // 0000000068F8: D1CB0021 84540B21
	v_fma_f32 v34, v34, s5, -v21                               // 000000006900: D1CB0022 84540B22
	v_fma_f32 v35, v35, s5, -v21                               // 000000006908: D1CB0023 84540B23
	v_exp_f32_e32 v32, v32                                     // 000000006910: 7E404120
	v_exp_f32_e32 v33, v33                                     // 000000006914: 7E424121
	v_exp_f32_e32 v34, v34                                     // 000000006918: 7E444122
	v_exp_f32_e32 v35, v35                                     // 00000000691C: 7E464123
	v_mul_f32_e32 v14, v16, v14                                // 000000006920: 0A1C1D10
	v_mov_b32_e32 v22, v32                                     // 000000006924: 7E2C0320
	v_add_f32_e32 v22, v33, v22                                // 000000006928: 022C2D21
	v_add_f32_e32 v22, v34, v22                                // 00000000692C: 022C2D22
	v_add_f32_e32 v22, v35, v22                                // 000000006930: 022C2D23
	v_add_f32_e32 v14, v22, v14                                // 000000006934: 021C1D16
	v_mov_b32_e32 v29, 0xffff0000                              // 000000006938: 7E3A02FF FFFF0000
	v_mov_b32_e32 v30, 0x7fff0000                              // 000000006940: 7E3C02FF 7FFF0000
	v_mov_b32_e32 v31, 0x7fff                                  // 000000006948: 7E3E02FF 00007FFF
	v_cmp_u_f32_e64 s[38:39], v32, v32                         // 000000006950: D0480026 00024120
	v_add3_u32 v28, v32, v31, 1                                // 000000006958: D1FF001C 02063F20
	v_cndmask_b32_e64 v20, v28, v30, s[38:39]                  // 000000006960: D1000014 009A3D1C
	v_cmp_u_f32_e64 s[38:39], v33, v33                         // 000000006968: D0480026 00024321
	v_add3_u32 v28, v33, v31, 1                                // 000000006970: D1FF001C 02063F21
	v_cndmask_b32_e64 v21, v28, v30, s[38:39]                  // 000000006978: D1000015 009A3D1C
	v_perm_b32 v32, v21, v20, s52                              // 000000006980: D1ED0020 00D22915
	v_cmp_u_f32_e64 s[38:39], v34, v34                         // 000000006988: D0480026 00024522
	v_add3_u32 v28, v34, v31, 1                                // 000000006990: D1FF001C 02063F22
	v_cndmask_b32_e64 v20, v28, v30, s[38:39]                  // 000000006998: D1000014 009A3D1C
	v_cmp_u_f32_e64 s[38:39], v35, v35                         // 0000000069A0: D0480026 00024723
	v_add3_u32 v28, v35, v31, 1                                // 0000000069A8: D1FF001C 02063F23
	v_cndmask_b32_e64 v21, v28, v30, s[38:39]                  // 0000000069B0: D1000015 009A3D1C
	v_perm_b32 v33, v21, v20, s52                              // 0000000069B8: D1ED0021 00D22915
	s_nop 2                                                    // 0000000069C0: BF800002
	s_add_u32 s83, s84, s83                                    // 0000000069C4: 80535354
	s_nop 0                                                    // 0000000069C8: BF800000
	v_mov_b32_e32 v22, v16                                     // 0000000069CC: 7E2C0310
	v_mov_b32_e32 v23, v16                                     // 0000000069D0: 7E2E0310
	v_pk_mul_f32 v[40:41], v[22:23], v[40:41]                  // 0000000069D4: D3B14028 18025116
	v_pk_mul_f32 v[42:43], v[22:23], v[42:43]                  // 0000000069DC: D3B1402A 18025516
	v_pk_mul_f32 v[44:45], v[22:23], v[44:45]                  // 0000000069E4: D3B1402C 18025916
	v_pk_mul_f32 v[46:47], v[22:23], v[46:47]                  // 0000000069EC: D3B1402E 18025D16
	v_pk_mul_f32 v[48:49], v[22:23], v[48:49]                  // 0000000069F4: D3B14030 18026116
	v_pk_mul_f32 v[50:51], v[22:23], v[50:51]                  // 0000000069FC: D3B14032 18026516
	v_pk_mul_f32 v[52:53], v[22:23], v[52:53]                  // 000000006A04: D3B14034 18026916
	v_pk_mul_f32 v[54:55], v[22:23], v[54:55]                  // 000000006A0C: D3B14036 18026D16
	v_pk_mul_f32 v[56:57], v[22:23], v[56:57]                  // 000000006A14: D3B14038 18027116
	v_pk_mul_f32 v[58:59], v[22:23], v[58:59]                  // 000000006A1C: D3B1403A 18027516
	v_pk_mul_f32 v[60:61], v[22:23], v[60:61]                  // 000000006A24: D3B1403C 18027916
	v_pk_mul_f32 v[62:63], v[22:23], v[62:63]                  // 000000006A2C: D3B1403E 18027D16
	v_pk_mul_f32 v[64:65], v[22:23], v[64:65]                  // 000000006A34: D3B14040 18028116
	v_pk_mul_f32 v[66:67], v[22:23], v[66:67]                  // 000000006A3C: D3B14042 18028516
	v_pk_mul_f32 v[68:69], v[22:23], v[68:69]                  // 000000006A44: D3B14044 18028916
	v_pk_mul_f32 v[70:71], v[22:23], v[70:71]                  // 000000006A4C: D3B14046 18028D16
	v_pk_mul_f32 v[72:73], v[22:23], v[72:73]                  // 000000006A54: D3B14048 18029116
	v_pk_mul_f32 v[74:75], v[22:23], v[74:75]                  // 000000006A5C: D3B1404A 18029516
	v_pk_mul_f32 v[76:77], v[22:23], v[76:77]                  // 000000006A64: D3B1404C 18029916
	v_pk_mul_f32 v[78:79], v[22:23], v[78:79]                  // 000000006A6C: D3B1404E 18029D16
	v_pk_mul_f32 v[80:81], v[22:23], v[80:81]                  // 000000006A74: D3B14050 1802A116
	v_pk_mul_f32 v[82:83], v[22:23], v[82:83]                  // 000000006A7C: D3B14052 1802A516
	v_pk_mul_f32 v[84:85], v[22:23], v[84:85]                  // 000000006A84: D3B14054 1802A916
	v_pk_mul_f32 v[86:87], v[22:23], v[86:87]                  // 000000006A8C: D3B14056 1802AD16
	v_pk_mul_f32 v[88:89], v[22:23], v[88:89]                  // 000000006A94: D3B14058 1802B116
	v_pk_mul_f32 v[90:91], v[22:23], v[90:91]                  // 000000006A9C: D3B1405A 1802B516
	v_pk_mul_f32 v[92:93], v[22:23], v[92:93]                  // 000000006AA4: D3B1405C 1802B916
	v_pk_mul_f32 v[94:95], v[22:23], v[94:95]                  // 000000006AAC: D3B1405E 1802BD16
	v_pk_mul_f32 v[96:97], v[22:23], v[96:97]                  // 000000006AB4: D3B14060 1802C116
	v_pk_mul_f32 v[98:99], v[22:23], v[98:99]                  // 000000006ABC: D3B14062 1802C516
	v_pk_mul_f32 v[100:101], v[22:23], v[100:101]              // 000000006AC4: D3B14064 1802C916
	v_pk_mul_f32 v[102:103], v[22:23], v[102:103]              // 000000006ACC: D3B14066 1802CD16
	v_pk_mul_f32 v[104:105], v[22:23], v[104:105]              // 000000006AD4: D3B14068 1802D116
	v_pk_mul_f32 v[106:107], v[22:23], v[106:107]              // 000000006ADC: D3B1406A 1802D516
	v_pk_mul_f32 v[108:109], v[22:23], v[108:109]              // 000000006AE4: D3B1406C 1802D916
	v_pk_mul_f32 v[110:111], v[22:23], v[110:111]              // 000000006AEC: D3B1406E 1802DD16
	v_pk_mul_f32 v[112:113], v[22:23], v[112:113]              // 000000006AF4: D3B14070 1802E116
	v_pk_mul_f32 v[114:115], v[22:23], v[114:115]              // 000000006AFC: D3B14072 1802E516
	v_pk_mul_f32 v[116:117], v[22:23], v[116:117]              // 000000006B04: D3B14074 1802E916
	v_pk_mul_f32 v[118:119], v[22:23], v[118:119]              // 000000006B0C: D3B14076 1802ED16
	v_pk_mul_f32 v[120:121], v[22:23], v[120:121]              // 000000006B14: D3B14078 1802F116
	v_pk_mul_f32 v[122:123], v[22:23], v[122:123]              // 000000006B1C: D3B1407A 1802F516
	v_pk_mul_f32 v[124:125], v[22:23], v[124:125]              // 000000006B24: D3B1407C 1802F916
	v_pk_mul_f32 v[126:127], v[22:23], v[126:127]              // 000000006B2C: D3B1407E 1802FD16
	v_pk_mul_f32 v[128:129], v[22:23], v[128:129]              // 000000006B34: D3B14080 18030116
	v_pk_mul_f32 v[130:131], v[22:23], v[130:131]              // 000000006B3C: D3B14082 18030516
	v_pk_mul_f32 v[132:133], v[22:23], v[132:133]              // 000000006B44: D3B14084 18030916
	v_pk_mul_f32 v[134:135], v[22:23], v[134:135]              // 000000006B4C: D3B14086 18030D16
	v_pk_mul_f32 v[136:137], v[22:23], v[136:137]              // 000000006B54: D3B14088 18031116
	v_pk_mul_f32 v[138:139], v[22:23], v[138:139]              // 000000006B5C: D3B1408A 18031516
	v_pk_mul_f32 v[140:141], v[22:23], v[140:141]              // 000000006B64: D3B1408C 18031916
	v_pk_mul_f32 v[142:143], v[22:23], v[142:143]              // 000000006B6C: D3B1408E 18031D16
	v_pk_mul_f32 v[144:145], v[22:23], v[144:145]              // 000000006B74: D3B14090 18032116
	v_pk_mul_f32 v[146:147], v[22:23], v[146:147]              // 000000006B7C: D3B14092 18032516
	v_pk_mul_f32 v[148:149], v[22:23], v[148:149]              // 000000006B84: D3B14094 18032916
	v_pk_mul_f32 v[150:151], v[22:23], v[150:151]              // 000000006B8C: D3B14096 18032D16
	v_pk_mul_f32 v[152:153], v[22:23], v[152:153]              // 000000006B94: D3B14098 18033116
	v_pk_mul_f32 v[154:155], v[22:23], v[154:155]              // 000000006B9C: D3B1409A 18033516
	v_pk_mul_f32 v[156:157], v[22:23], v[156:157]              // 000000006BA4: D3B1409C 18033916
	v_pk_mul_f32 v[158:159], v[22:23], v[158:159]              // 000000006BAC: D3B1409E 18033D16
	v_pk_mul_f32 v[160:161], v[22:23], v[160:161]              // 000000006BB4: D3B140A0 18034116
	v_pk_mul_f32 v[162:163], v[22:23], v[162:163]              // 000000006BBC: D3B140A2 18034516
	v_pk_mul_f32 v[164:165], v[22:23], v[164:165]              // 000000006BC4: D3B140A4 18034916
	v_pk_mul_f32 v[166:167], v[22:23], v[166:167]              // 000000006BCC: D3B140A6 18034D16
	s_waitcnt lgkmcnt(0)                                       // 000000006BD4: BF8CC07F
	v_mfma_f32_16x16x16_bf16 v[40:43], a[144:145], v[32:33], v[40:43]// 000000006BD8: D3E10028 0CA24190
	ds_read_b128 a[176:179], v7 offset:45312                   // 000000006BE0: DBFEB100 B0000007
	ds_read_b128 a[180:183], v7 offset:46336                   // 000000006BE8: DBFEB500 B4000007
	v_mfma_f32_16x16x16_bf16 v[44:47], a[146:147], v[32:33], v[44:47]// 000000006BF0: D3E1002C 0CB24192
	v_mfma_f32_16x16x16_bf16 v[48:51], a[148:149], v[32:33], v[48:51]// 000000006BF8: D3E10030 0CC24194
	v_mfma_f32_16x16x16_bf16 v[52:55], a[150:151], v[32:33], v[52:55]// 000000006C00: D3E10034 0CD24196
	v_mfma_f32_16x16x16_bf16 v[56:59], a[152:153], v[32:33], v[56:59]// 000000006C08: D3E10038 0CE24198
	ds_read_b128 a[184:187], v7 offset:47360                   // 000000006C10: DBFEB900 B8000007
	ds_read_b128 a[188:191], v7 offset:48384                   // 000000006C18: DBFEBD00 BC000007
	v_mfma_f32_16x16x16_bf16 v[60:63], a[154:155], v[32:33], v[60:63]// 000000006C20: D3E1003C 0CF2419A
	v_mfma_f32_16x16x16_bf16 v[64:67], a[156:157], v[32:33], v[64:67]// 000000006C28: D3E10040 0D02419C
	v_mfma_f32_16x16x16_bf16 v[68:71], a[158:159], v[32:33], v[68:71]// 000000006C30: D3E10044 0D12419E
	v_mfma_f32_16x16x16_bf16 v[72:75], a[160:161], v[32:33], v[72:75]// 000000006C38: D3E10048 0D2241A0
	ds_read_b128 a[192:195], v7 offset:49408                   // 000000006C40: DBFEC100 C0000007
	ds_read_b128 a[196:199], v7 offset:50432                   // 000000006C48: DBFEC500 C4000007
	v_mfma_f32_16x16x16_bf16 v[76:79], a[162:163], v[32:33], v[76:79]// 000000006C50: D3E1004C 0D3241A2
	v_mfma_f32_16x16x16_bf16 v[80:83], a[164:165], v[32:33], v[80:83]// 000000006C58: D3E10050 0D4241A4
	v_mfma_f32_16x16x16_bf16 v[84:87], a[166:167], v[32:33], v[84:87]// 000000006C60: D3E10054 0D5241A6
	v_mfma_f32_16x16x16_bf16 v[88:91], a[168:169], v[32:33], v[88:91]// 000000006C68: D3E10058 0D6241A8
	ds_read_b128 a[200:203], v7 offset:51456                   // 000000006C70: DBFEC900 C8000007
	ds_read_b128 a[204:207], v7 offset:52480                   // 000000006C78: DBFECD00 CC000007
	v_mfma_f32_16x16x16_bf16 v[92:95], a[170:171], v[32:33], v[92:95]// 000000006C80: D3E1005C 0D7241AA
	v_mfma_f32_16x16x16_bf16 v[96:99], a[172:173], v[32:33], v[96:99]// 000000006C88: D3E10060 0D8241AC
	v_mfma_f32_16x16x16_bf16 v[100:103], a[174:175], v[32:33], v[100:103]// 000000006C90: D3E10064 0D9241AE
	s_waitcnt lgkmcnt(4)                                       // 000000006C98: BF8CC47F
	v_mfma_f32_16x16x16_bf16 v[104:107], a[176:177], v[32:33], v[104:107]// 000000006C9C: D3E10068 0DA241B0
	v_mfma_f32_16x16x16_bf16 v[108:111], a[178:179], v[32:33], v[108:111]// 000000006CA4: D3E1006C 0DB241B2
	v_mfma_f32_16x16x16_bf16 v[112:115], a[180:181], v[32:33], v[112:115]// 000000006CAC: D3E10070 0DC241B4
	s_waitcnt vmcnt(18) lgkmcnt(0)                             // 000000006CB4: BF8C4072
	s_barrier                                                  // 000000006CB8: BF8A0000
	v_mfma_f32_16x16x16_bf16 v[116:119], a[182:183], v[32:33], v[116:119]// 000000006CBC: D3E10074 0DD241B6
	v_mfma_f32_16x16x16_bf16 v[120:123], a[184:185], v[32:33], v[120:123]// 000000006CC4: D3E10078 0DE241B8
	v_mfma_f32_16x16x16_bf16 v[124:127], a[186:187], v[32:33], v[124:127]// 000000006CCC: D3E1007C 0DF241BA
	v_mfma_f32_16x16x16_bf16 v[128:131], a[188:189], v[32:33], v[128:131]// 000000006CD4: D3E10080 0E0241BC
	v_mfma_f32_16x16x16_bf16 v[132:135], a[190:191], v[32:33], v[132:135]// 000000006CDC: D3E10084 0E1241BE
	v_mfma_f32_16x16x16_bf16 v[136:139], a[192:193], v[32:33], v[136:139]// 000000006CE4: D3E10088 0E2241C0
	v_mfma_f32_16x16x16_bf16 v[140:143], a[194:195], v[32:33], v[140:143]// 000000006CEC: D3E1008C 0E3241C2
	v_mfma_f32_16x16x16_bf16 v[144:147], a[196:197], v[32:33], v[144:147]// 000000006CF4: D3E10090 0E4241C4
	v_mfma_f32_16x16x16_bf16 v[148:151], a[198:199], v[32:33], v[148:151]// 000000006CFC: D3E10094 0E5241C6
	v_mfma_f32_16x16x16_bf16 v[152:155], a[200:201], v[32:33], v[152:155]// 000000006D04: D3E10098 0E6241C8
	v_mfma_f32_16x16x16_bf16 v[156:159], a[202:203], v[32:33], v[156:159]// 000000006D0C: D3E1009C 0E7241CA
	v_mfma_f32_16x16x16_bf16 v[160:163], a[204:205], v[32:33], v[160:163]// 000000006D14: D3E100A0 0E8241CC
	v_mfma_f32_16x16x16_bf16 v[164:167], a[206:207], v[32:33], v[164:167]// 000000006D1C: D3E100A4 0E9241CE
	s_nop 8                                                    // 000000006D24: BF800008
	s_branch label_482C                                        // 000000006D28: BF820000

0000000000006d2c <label_482C>:
	ds_write_b32 v3, v14 offset:55552                          // 000000006D2C: D81AD900 00000E03
	ds_write_b32 v3, v15 offset:56576                          // 000000006D34: D81ADD00 00000F03
	s_waitcnt lgkmcnt(0)                                       // 000000006D3C: BF8CC07F
	ds_read_b32 v20, v2 offset:55552                           // 000000006D40: D86CD900 14000002
	ds_read_b32 v21, v2 offset:55616                           // 000000006D48: D86CD940 15000002
	ds_read_b32 v22, v2 offset:55680                           // 000000006D50: D86CD980 16000002
	ds_read_b32 v23, v2 offset:55744                           // 000000006D58: D86CD9C0 17000002
	ds_read_b32 v24, v2 offset:56576                           // 000000006D60: D86CDD00 18000002
	ds_read_b32 v25, v2 offset:56640                           // 000000006D68: D86CDD40 19000002
	ds_read_b32 v26, v2 offset:56704                           // 000000006D70: D86CDD80 1A000002
	ds_read_b32 v27, v2 offset:56768                           // 000000006D78: D86CDDC0 1B000002
	s_waitcnt lgkmcnt(0)                                       // 000000006D80: BF8CC07F
	v_mov_b32_e32 v14, 0                                       // 000000006D84: 7E1C0280
	v_mov_b32_e32 v15, 0                                       // 000000006D88: 7E1E0280
	v_add_f32_e32 v14, v20, v14                                // 000000006D8C: 021C1D14
	v_add_f32_e32 v15, v24, v15                                // 000000006D90: 021E1F18
	v_add_f32_e32 v14, v21, v14                                // 000000006D94: 021C1D15
	v_add_f32_e32 v15, v25, v15                                // 000000006D98: 021E1F19
	v_add_f32_e32 v14, v22, v14                                // 000000006D9C: 021C1D16
	v_add_f32_e32 v15, v26, v15                                // 000000006DA0: 021E1F1A
	v_add_f32_e32 v14, v23, v14                                // 000000006DA4: 021C1D17
	v_add_f32_e32 v15, v27, v15                                // 000000006DA8: 021E1F1B
	v_mov_b32_e32 v20, 0                                       // 000000006DAC: 7E280280
	v_cmp_eq_u32_e64 s[38:39], v20, v14                        // 000000006DB0: D0CA0026 00021D14
	v_cmp_eq_u32_e64 s[40:41], v20, v15                        // 000000006DB8: D0CA0028 00021F14
	v_mul_f32_e64 v20, v12, s64                                // 000000006DC0: D1050014 0000810C
	v_mul_f32_e64 v22, v13, s64                                // 000000006DC8: D1050016 0000810D
	v_log_f32_e32 v21, v14                                     // 000000006DD0: 7E2A430E
	v_log_f32_e32 v23, v15                                     // 000000006DD4: 7E2E430F
	v_cndmask_b32_e64 v14, v14, 1.0, s[38:39]                  // 000000006DD8: D100000E 0099E50E
	v_cndmask_b32_e64 v15, v15, 1.0, s[40:41]                  // 000000006DE0: D100000F 00A1E50F
	s_nop 1                                                    // 000000006DE8: BF800001
	v_rcp_f32_e32 v14, v14                                     // 000000006DEC: 7E1C450E
	v_rcp_f32_e32 v15, v15                                     // 000000006DF0: 7E1E450F
	s_nop 1                                                    // 000000006DF4: BF800001
	v_fma_f32 v24, v21, s63, v20                               // 000000006DF8: D1CB0018 04507F15
	v_fma_f32 v25, v23, s63, v22                               // 000000006E00: D1CB0019 04587F17
	v_mul_f32_e32 v40, v14, v40                                // 000000006E08: 0A50510E
	v_mul_f32_e32 v41, v14, v41                                // 000000006E0C: 0A52530E
	v_mul_f32_e32 v42, v14, v42                                // 000000006E10: 0A54550E
	v_mul_f32_e32 v43, v14, v43                                // 000000006E14: 0A56570E
	v_mul_f32_e32 v44, v14, v44                                // 000000006E18: 0A58590E
	v_mul_f32_e32 v45, v14, v45                                // 000000006E1C: 0A5A5B0E
	v_mul_f32_e32 v46, v14, v46                                // 000000006E20: 0A5C5D0E
	v_mul_f32_e32 v47, v14, v47                                // 000000006E24: 0A5E5F0E
	v_mul_f32_e32 v48, v14, v48                                // 000000006E28: 0A60610E
	v_mul_f32_e32 v49, v14, v49                                // 000000006E2C: 0A62630E
	v_mul_f32_e32 v50, v14, v50                                // 000000006E30: 0A64650E
	v_mul_f32_e32 v51, v14, v51                                // 000000006E34: 0A66670E
	v_mul_f32_e32 v52, v14, v52                                // 000000006E38: 0A68690E
	v_mul_f32_e32 v53, v14, v53                                // 000000006E3C: 0A6A6B0E
	v_mul_f32_e32 v54, v14, v54                                // 000000006E40: 0A6C6D0E
	v_mul_f32_e32 v55, v14, v55                                // 000000006E44: 0A6E6F0E
	v_mul_f32_e32 v56, v14, v56                                // 000000006E48: 0A70710E
	v_mul_f32_e32 v57, v14, v57                                // 000000006E4C: 0A72730E
	v_mul_f32_e32 v58, v14, v58                                // 000000006E50: 0A74750E
	v_mul_f32_e32 v59, v14, v59                                // 000000006E54: 0A76770E
	v_mul_f32_e32 v60, v14, v60                                // 000000006E58: 0A78790E
	v_mul_f32_e32 v61, v14, v61                                // 000000006E5C: 0A7A7B0E
	v_mul_f32_e32 v62, v14, v62                                // 000000006E60: 0A7C7D0E
	v_mul_f32_e32 v63, v14, v63                                // 000000006E64: 0A7E7F0E
	v_mul_f32_e32 v64, v14, v64                                // 000000006E68: 0A80810E
	v_mul_f32_e32 v65, v14, v65                                // 000000006E6C: 0A82830E
	v_mul_f32_e32 v66, v14, v66                                // 000000006E70: 0A84850E
	v_mul_f32_e32 v67, v14, v67                                // 000000006E74: 0A86870E
	v_mul_f32_e32 v68, v14, v68                                // 000000006E78: 0A88890E
	v_mul_f32_e32 v69, v14, v69                                // 000000006E7C: 0A8A8B0E
	v_mul_f32_e32 v70, v14, v70                                // 000000006E80: 0A8C8D0E
	v_mul_f32_e32 v71, v14, v71                                // 000000006E84: 0A8E8F0E
	v_mul_f32_e32 v72, v14, v72                                // 000000006E88: 0A90910E
	v_mul_f32_e32 v73, v14, v73                                // 000000006E8C: 0A92930E
	v_mul_f32_e32 v74, v14, v74                                // 000000006E90: 0A94950E
	v_mul_f32_e32 v75, v14, v75                                // 000000006E94: 0A96970E
	v_mul_f32_e32 v76, v14, v76                                // 000000006E98: 0A98990E
	v_mul_f32_e32 v77, v14, v77                                // 000000006E9C: 0A9A9B0E
	v_mul_f32_e32 v78, v14, v78                                // 000000006EA0: 0A9C9D0E
	v_mul_f32_e32 v79, v14, v79                                // 000000006EA4: 0A9E9F0E
	v_mul_f32_e32 v80, v14, v80                                // 000000006EA8: 0AA0A10E
	v_mul_f32_e32 v81, v14, v81                                // 000000006EAC: 0AA2A30E
	v_mul_f32_e32 v82, v14, v82                                // 000000006EB0: 0AA4A50E
	v_mul_f32_e32 v83, v14, v83                                // 000000006EB4: 0AA6A70E
	v_mul_f32_e32 v84, v14, v84                                // 000000006EB8: 0AA8A90E
	v_mul_f32_e32 v85, v14, v85                                // 000000006EBC: 0AAAAB0E
	v_mul_f32_e32 v86, v14, v86                                // 000000006EC0: 0AACAD0E
	v_mul_f32_e32 v87, v14, v87                                // 000000006EC4: 0AAEAF0E
	v_mul_f32_e32 v88, v14, v88                                // 000000006EC8: 0AB0B10E
	v_mul_f32_e32 v89, v14, v89                                // 000000006ECC: 0AB2B30E
	v_mul_f32_e32 v90, v14, v90                                // 000000006ED0: 0AB4B50E
	v_mul_f32_e32 v91, v14, v91                                // 000000006ED4: 0AB6B70E
	v_mul_f32_e32 v92, v14, v92                                // 000000006ED8: 0AB8B90E
	v_mul_f32_e32 v93, v14, v93                                // 000000006EDC: 0ABABB0E
	v_mul_f32_e32 v94, v14, v94                                // 000000006EE0: 0ABCBD0E
	v_mul_f32_e32 v95, v14, v95                                // 000000006EE4: 0ABEBF0E
	v_mul_f32_e32 v96, v14, v96                                // 000000006EE8: 0AC0C10E
	v_mul_f32_e32 v97, v14, v97                                // 000000006EEC: 0AC2C30E
	v_mul_f32_e32 v98, v14, v98                                // 000000006EF0: 0AC4C50E
	v_mul_f32_e32 v99, v14, v99                                // 000000006EF4: 0AC6C70E
	v_mul_f32_e32 v100, v14, v100                              // 000000006EF8: 0AC8C90E
	v_mul_f32_e32 v101, v14, v101                              // 000000006EFC: 0ACACB0E
	v_mul_f32_e32 v102, v14, v102                              // 000000006F00: 0ACCCD0E
	v_mul_f32_e32 v103, v14, v103                              // 000000006F04: 0ACECF0E
	v_mul_f32_e32 v104, v14, v104                              // 000000006F08: 0AD0D10E
	v_mul_f32_e32 v105, v14, v105                              // 000000006F0C: 0AD2D30E
	v_mul_f32_e32 v106, v14, v106                              // 000000006F10: 0AD4D50E
	v_mul_f32_e32 v107, v14, v107                              // 000000006F14: 0AD6D70E
	v_mul_f32_e32 v108, v14, v108                              // 000000006F18: 0AD8D90E
	v_mul_f32_e32 v109, v14, v109                              // 000000006F1C: 0ADADB0E
	v_mul_f32_e32 v110, v14, v110                              // 000000006F20: 0ADCDD0E
	v_mul_f32_e32 v111, v14, v111                              // 000000006F24: 0ADEDF0E
	v_mul_f32_e32 v112, v14, v112                              // 000000006F28: 0AE0E10E
	v_mul_f32_e32 v113, v14, v113                              // 000000006F2C: 0AE2E30E
	v_mul_f32_e32 v114, v14, v114                              // 000000006F30: 0AE4E50E
	v_mul_f32_e32 v115, v14, v115                              // 000000006F34: 0AE6E70E
	v_mul_f32_e32 v116, v14, v116                              // 000000006F38: 0AE8E90E
	v_mul_f32_e32 v117, v14, v117                              // 000000006F3C: 0AEAEB0E
	v_mul_f32_e32 v118, v14, v118                              // 000000006F40: 0AECED0E
	v_mul_f32_e32 v119, v14, v119                              // 000000006F44: 0AEEEF0E
	v_mul_f32_e32 v120, v14, v120                              // 000000006F48: 0AF0F10E
	v_mul_f32_e32 v121, v14, v121                              // 000000006F4C: 0AF2F30E
	v_mul_f32_e32 v122, v14, v122                              // 000000006F50: 0AF4F50E
	v_mul_f32_e32 v123, v14, v123                              // 000000006F54: 0AF6F70E
	v_mul_f32_e32 v124, v14, v124                              // 000000006F58: 0AF8F90E
	v_mul_f32_e32 v125, v14, v125                              // 000000006F5C: 0AFAFB0E
	v_mul_f32_e32 v126, v14, v126                              // 000000006F60: 0AFCFD0E
	v_mul_f32_e32 v127, v14, v127                              // 000000006F64: 0AFEFF0E
	v_mul_f32_e32 v128, v14, v128                              // 000000006F68: 0B01010E
	v_mul_f32_e32 v129, v14, v129                              // 000000006F6C: 0B03030E
	v_mul_f32_e32 v130, v14, v130                              // 000000006F70: 0B05050E
	v_mul_f32_e32 v131, v14, v131                              // 000000006F74: 0B07070E
	v_mul_f32_e32 v132, v14, v132                              // 000000006F78: 0B09090E
	v_mul_f32_e32 v133, v14, v133                              // 000000006F7C: 0B0B0B0E
	v_mul_f32_e32 v134, v14, v134                              // 000000006F80: 0B0D0D0E
	v_mul_f32_e32 v135, v14, v135                              // 000000006F84: 0B0F0F0E
	v_mul_f32_e32 v136, v14, v136                              // 000000006F88: 0B11110E
	v_mul_f32_e32 v137, v14, v137                              // 000000006F8C: 0B13130E
	v_mul_f32_e32 v138, v14, v138                              // 000000006F90: 0B15150E
	v_mul_f32_e32 v139, v14, v139                              // 000000006F94: 0B17170E
	v_mul_f32_e32 v140, v14, v140                              // 000000006F98: 0B19190E
	v_mul_f32_e32 v141, v14, v141                              // 000000006F9C: 0B1B1B0E
	v_mul_f32_e32 v142, v14, v142                              // 000000006FA0: 0B1D1D0E
	v_mul_f32_e32 v143, v14, v143                              // 000000006FA4: 0B1F1F0E
	v_mul_f32_e32 v144, v14, v144                              // 000000006FA8: 0B21210E
	v_mul_f32_e32 v145, v14, v145                              // 000000006FAC: 0B23230E
	v_mul_f32_e32 v146, v14, v146                              // 000000006FB0: 0B25250E
	v_mul_f32_e32 v147, v14, v147                              // 000000006FB4: 0B27270E
	v_mul_f32_e32 v148, v14, v148                              // 000000006FB8: 0B29290E
	v_mul_f32_e32 v149, v14, v149                              // 000000006FBC: 0B2B2B0E
	v_mul_f32_e32 v150, v14, v150                              // 000000006FC0: 0B2D2D0E
	v_mul_f32_e32 v151, v14, v151                              // 000000006FC4: 0B2F2F0E
	v_mul_f32_e32 v152, v14, v152                              // 000000006FC8: 0B31310E
	v_mul_f32_e32 v153, v14, v153                              // 000000006FCC: 0B33330E
	v_mul_f32_e32 v154, v14, v154                              // 000000006FD0: 0B35350E
	v_mul_f32_e32 v155, v14, v155                              // 000000006FD4: 0B37370E
	v_mul_f32_e32 v156, v14, v156                              // 000000006FD8: 0B39390E
	v_mul_f32_e32 v157, v14, v157                              // 000000006FDC: 0B3B3B0E
	v_mul_f32_e32 v158, v14, v158                              // 000000006FE0: 0B3D3D0E
	v_mul_f32_e32 v159, v14, v159                              // 000000006FE4: 0B3F3F0E
	v_mul_f32_e32 v160, v14, v160                              // 000000006FE8: 0B41410E
	v_mul_f32_e32 v161, v14, v161                              // 000000006FEC: 0B43430E
	v_mul_f32_e32 v162, v14, v162                              // 000000006FF0: 0B45450E
	v_mul_f32_e32 v163, v14, v163                              // 000000006FF4: 0B47470E
	v_mul_f32_e32 v164, v14, v164                              // 000000006FF8: 0B49490E
	v_mul_f32_e32 v165, v14, v165                              // 000000006FFC: 0B4B4B0E
	v_mul_f32_e32 v166, v14, v166                              // 000000007000: 0B4D4D0E
	v_mul_f32_e32 v167, v14, v167                              // 000000007004: 0B4F4F0E
	s_cmp_lt_i32 s87, 0                                        // 000000007008: BF048057
	s_cbranch_scc0 label_5F28                                  // 00000000700C: BF840506
	s_mov_b32 s75, 0x4000                                      // 000000007010: BECB00FF 00004000
	s_mul_i32 s56, s75, s78                                    // 000000007018: 92384E4B
	s_add_u32 s88, s56, s88                                    // 00000000701C: 80585838
	s_addc_u32 s89, 0, s89                                     // 000000007020: 82595980
	s_sub_u32 s56, s81, s80                                    // 000000007024: 80B85051
	s_mul_i32 s56, s56, s75                                    // 000000007028: 92384B38
	s_mov_b32 s90, s56                                         // 00000000702C: BEDA0038
	v_and_b32_e32 v20, 7, v0                                   // 000000007030: 26280087
	v_lshlrev_b32_e32 v18, 4, v20                              // 000000007034: 24242884
	v_lshrrev_b32_e32 v20, 3, v0                               // 000000007038: 20280083
	v_mul_i32_i24_e32 v20, 0x400, v20                          // 00000000703C: 0C2828FF 00000400
	s_mul_i32 s57, s75, s7                                     // 000000007044: 9239074B
	v_add_u32_e32 v20, s57, v20                                // 000000007048: 68282839
	v_add_u32_e32 v18, v18, v20                                // 00000000704C: 68242912
	v_mov_b32_e32 v19, v18                                     // 000000007050: 7E260312
	s_mov_b32 s58, 64                                          // 000000007054: BEBA00C0
	s_mul_i32 s56, s78, s58                                    // 000000007058: 92383A4E
	s_add_u32 s92, s56, s92                                    // 00000000705C: 805C5C38
	s_addc_u32 s93, 0, s93                                     // 000000007060: 825D5D80
	v_and_b32_e32 v26, 15, v0                                  // 000000007064: 2634008F
	v_lshlrev_b32_e32 v26, 2, v26                              // 000000007068: 24343482
	s_mul_i32 s56, s7, s58                                     // 00000000706C: 92383A07
	v_add_u32_e64 v26, v26, s56                                // 000000007070: D134001A 0000711A
	buffer_store_dword v24, v26, s[92:95], 0 offen             // 000000007078: E0701000 8017181A
	s_add_u32 s57, s7, 4                                       // 000000007080: 80398407
	s_cmp_lt_u32 s57, s81                                      // 000000007084: BF0A5139
	s_cbranch_scc0 label_4BA0                                  // 000000007088: BF840005
	s_mul_i32 s56, 64, 4                                       // 00000000708C: 923884C0
	v_add_u32_e64 v26, v26, s56                                // 000000007090: D134001A 0000711A
	buffer_store_dword v25, v26, s[92:95], 0 offen             // 000000007098: E0701000 8017191A

00000000000070a0 <label_4BA0>:
	s_waitcnt vmcnt(0) lgkmcnt(0)                              // 0000000070A0: BF8C0070
	s_barrier                                                  // 0000000070A4: BF8A0000
	s_mul_i32 s75, 0x400, s65                                  // 0000000070A8: 924B41FF 00000400
	s_mul_i32 s76, s67, s75                                    // 0000000070B0: 924C4B43
	v_lshrrev_b32_e32 v20, 4, v0                               // 0000000070B4: 20280084
	v_mul_i32_i24_e32 v5, 0x48, v20                            // 0000000070B8: 0C0A28FF 00000048
	v_and_b32_e32 v20, 15, v0                                  // 0000000070C0: 2628008F
	v_mul_i32_i24_e32 v20, 2, v20                              // 0000000070C4: 0C282882
	v_add_u32_e32 v5, v20, v5                                  // 0000000070C8: 680A0B14
	s_mul_i32 s56, s7, 0x480                                   // 0000000070CC: 9238FF07 00000480
	v_add_u32_e32 v5, s56, v5                                  // 0000000070D4: 680A0A38
	v_lshlrev_b32_e32 v5, 2, v5                                // 0000000070D8: 240A0A82
	v_lshrrev_b32_e32 v20, 3, v0                               // 0000000070DC: 20280083
	v_mul_i32_i24_e32 v4, 2, v20                               // 0000000070E0: 0C082882
	v_and_b32_e32 v20, 7, v0                                   // 0000000070E4: 26280087
	v_mul_i32_i24_e32 v20, 36, v20                             // 0000000070E8: 0C2828A4
	v_add_u32_e32 v4, v20, v4                                  // 0000000070EC: 68080914
	s_mul_i32 s56, s7, 0x480                                   // 0000000070F0: 9238FF07 00000480
	v_add_u32_e32 v4, s56, v4                                  // 0000000070F8: 68080838
	v_lshlrev_b32_e32 v4, 2, v4                                // 0000000070FC: 24080882
	v_mov_b32_e32 v29, 0xffff0000                              // 000000007100: 7E3A02FF FFFF0000
	v_mov_b32_e32 v30, 0x7fff0000                              // 000000007108: 7E3C02FF 7FFF0000
	v_mov_b32_e32 v31, 0x7fff                                  // 000000007110: 7E3E02FF 00007FFF
	s_mul_i32 s56, 0, s76                                      // 000000007118: 92384C80
	v_add_u32_e64 v19, v19, s56                                // 00000000711C: D1340013 00007113
	v_mov_b32_e32 v24, v40                                     // 000000007124: 7E300328
	v_mov_b32_e32 v25, v44                                     // 000000007128: 7E32032C
	v_mov_b32_e32 v26, v48                                     // 00000000712C: 7E340330
	v_mov_b32_e32 v27, v52                                     // 000000007130: 7E360334
	v_cmp_u_f32_e64 s[38:39], v24, v24                         // 000000007134: D0480026 00023118
	v_add3_u32 v28, v24, v31, 1                                // 00000000713C: D1FF001C 02063F18
	v_cndmask_b32_e64 v20, v28, v30, s[38:39]                  // 000000007144: D1000014 009A3D1C
	v_cmp_u_f32_e64 s[38:39], v25, v25                         // 00000000714C: D0480026 00023319
	v_add3_u32 v28, v25, v31, 1                                // 000000007154: D1FF001C 02063F19
	v_cndmask_b32_e64 v21, v28, v30, s[38:39]                  // 00000000715C: D1000015 009A3D1C
	v_perm_b32 v24, v21, v20, s52                              // 000000007164: D1ED0018 00D22915
	v_cmp_u_f32_e64 s[38:39], v26, v26                         // 00000000716C: D0480026 0002351A
	v_add3_u32 v28, v26, v31, 1                                // 000000007174: D1FF001C 02063F1A
	v_cndmask_b32_e64 v20, v28, v30, s[38:39]                  // 00000000717C: D1000014 009A3D1C
	v_cmp_u_f32_e64 s[38:39], v27, v27                         // 000000007184: D0480026 0002371B
	v_add3_u32 v28, v27, v31, 1                                // 00000000718C: D1FF001C 02063F1B
	v_cndmask_b32_e64 v21, v28, v30, s[38:39]                  // 000000007194: D1000015 009A3D1C
	v_perm_b32 v25, v21, v20, s52                              // 00000000719C: D1ED0019 00D22915
	ds_write_b64 v5, v[24:25]                                  // 0000000071A4: D89A0000 00001805
	v_mov_b32_e32 v24, v41                                     // 0000000071AC: 7E300329
	v_mov_b32_e32 v25, v45                                     // 0000000071B0: 7E32032D
	v_mov_b32_e32 v26, v49                                     // 0000000071B4: 7E340331
	v_mov_b32_e32 v27, v53                                     // 0000000071B8: 7E360335
	v_cmp_u_f32_e64 s[38:39], v24, v24                         // 0000000071BC: D0480026 00023118
	v_add3_u32 v28, v24, v31, 1                                // 0000000071C4: D1FF001C 02063F18
	v_cndmask_b32_e64 v20, v28, v30, s[38:39]                  // 0000000071CC: D1000014 009A3D1C
	v_cmp_u_f32_e64 s[38:39], v25, v25                         // 0000000071D4: D0480026 00023319
	v_add3_u32 v28, v25, v31, 1                                // 0000000071DC: D1FF001C 02063F19
	v_cndmask_b32_e64 v21, v28, v30, s[38:39]                  // 0000000071E4: D1000015 009A3D1C
	v_perm_b32 v24, v21, v20, s52                              // 0000000071EC: D1ED0018 00D22915
	v_cmp_u_f32_e64 s[38:39], v26, v26                         // 0000000071F4: D0480026 0002351A
	v_add3_u32 v28, v26, v31, 1                                // 0000000071FC: D1FF001C 02063F1A
	v_cndmask_b32_e64 v20, v28, v30, s[38:39]                  // 000000007204: D1000014 009A3D1C
	v_cmp_u_f32_e64 s[38:39], v27, v27                         // 00000000720C: D0480026 0002371B
	v_add3_u32 v28, v27, v31, 1                                // 000000007214: D1FF001C 02063F1B
	v_cndmask_b32_e64 v21, v28, v30, s[38:39]                  // 00000000721C: D1000015 009A3D1C
	v_perm_b32 v25, v21, v20, s52                              // 000000007224: D1ED0019 00D22915
	ds_write_b64 v5, v[24:25] offset:1152                      // 00000000722C: D89A0480 00001805
	v_mov_b32_e32 v24, v42                                     // 000000007234: 7E30032A
	v_mov_b32_e32 v25, v46                                     // 000000007238: 7E32032E
	v_mov_b32_e32 v26, v50                                     // 00000000723C: 7E340332
	v_mov_b32_e32 v27, v54                                     // 000000007240: 7E360336
	v_cmp_u_f32_e64 s[38:39], v24, v24                         // 000000007244: D0480026 00023118
	v_add3_u32 v28, v24, v31, 1                                // 00000000724C: D1FF001C 02063F18
	v_cndmask_b32_e64 v20, v28, v30, s[38:39]                  // 000000007254: D1000014 009A3D1C
	v_cmp_u_f32_e64 s[38:39], v25, v25                         // 00000000725C: D0480026 00023319
	v_add3_u32 v28, v25, v31, 1                                // 000000007264: D1FF001C 02063F19
	v_cndmask_b32_e64 v21, v28, v30, s[38:39]                  // 00000000726C: D1000015 009A3D1C
	v_perm_b32 v24, v21, v20, s52                              // 000000007274: D1ED0018 00D22915
	v_cmp_u_f32_e64 s[38:39], v26, v26                         // 00000000727C: D0480026 0002351A
	v_add3_u32 v28, v26, v31, 1                                // 000000007284: D1FF001C 02063F1A
	v_cndmask_b32_e64 v20, v28, v30, s[38:39]                  // 00000000728C: D1000014 009A3D1C
	v_cmp_u_f32_e64 s[38:39], v27, v27                         // 000000007294: D0480026 0002371B
	v_add3_u32 v28, v27, v31, 1                                // 00000000729C: D1FF001C 02063F1B
	v_cndmask_b32_e64 v21, v28, v30, s[38:39]                  // 0000000072A4: D1000015 009A3D1C
	v_perm_b32 v25, v21, v20, s52                              // 0000000072AC: D1ED0019 00D22915
	ds_write_b64 v5, v[24:25] offset:144                       // 0000000072B4: D89A0090 00001805
	v_mov_b32_e32 v24, v43                                     // 0000000072BC: 7E30032B
	v_mov_b32_e32 v25, v47                                     // 0000000072C0: 7E32032F
	v_mov_b32_e32 v26, v51                                     // 0000000072C4: 7E340333
	v_mov_b32_e32 v27, v55                                     // 0000000072C8: 7E360337
	v_cmp_u_f32_e64 s[38:39], v24, v24                         // 0000000072CC: D0480026 00023118
	v_add3_u32 v28, v24, v31, 1                                // 0000000072D4: D1FF001C 02063F18
	v_cndmask_b32_e64 v20, v28, v30, s[38:39]                  // 0000000072DC: D1000014 009A3D1C
	v_cmp_u_f32_e64 s[38:39], v25, v25                         // 0000000072E4: D0480026 00023319
	v_add3_u32 v28, v25, v31, 1                                // 0000000072EC: D1FF001C 02063F19
	v_cndmask_b32_e64 v21, v28, v30, s[38:39]                  // 0000000072F4: D1000015 009A3D1C
	v_perm_b32 v24, v21, v20, s52                              // 0000000072FC: D1ED0018 00D22915
	v_cmp_u_f32_e64 s[38:39], v26, v26                         // 000000007304: D0480026 0002351A
	v_add3_u32 v28, v26, v31, 1                                // 00000000730C: D1FF001C 02063F1A
	v_cndmask_b32_e64 v20, v28, v30, s[38:39]                  // 000000007314: D1000014 009A3D1C
	v_cmp_u_f32_e64 s[38:39], v27, v27                         // 00000000731C: D0480026 0002371B
	v_add3_u32 v28, v27, v31, 1                                // 000000007324: D1FF001C 02063F1B
	v_cndmask_b32_e64 v21, v28, v30, s[38:39]                  // 00000000732C: D1000015 009A3D1C
	v_perm_b32 v25, v21, v20, s52                              // 000000007334: D1ED0019 00D22915
	ds_write_b64 v5, v[24:25] offset:1296                      // 00000000733C: D89A0510 00001805
	v_mov_b32_e32 v24, v56                                     // 000000007344: 7E300338
	v_mov_b32_e32 v25, v60                                     // 000000007348: 7E32033C
	v_mov_b32_e32 v26, v64                                     // 00000000734C: 7E340340
	v_mov_b32_e32 v27, v68                                     // 000000007350: 7E360344
	v_cmp_u_f32_e64 s[38:39], v24, v24                         // 000000007354: D0480026 00023118
	v_add3_u32 v28, v24, v31, 1                                // 00000000735C: D1FF001C 02063F18
	v_cndmask_b32_e64 v20, v28, v30, s[38:39]                  // 000000007364: D1000014 009A3D1C
	v_cmp_u_f32_e64 s[38:39], v25, v25                         // 00000000736C: D0480026 00023319
	v_add3_u32 v28, v25, v31, 1                                // 000000007374: D1FF001C 02063F19
	v_cndmask_b32_e64 v21, v28, v30, s[38:39]                  // 00000000737C: D1000015 009A3D1C
	v_perm_b32 v24, v21, v20, s52                              // 000000007384: D1ED0018 00D22915
	v_cmp_u_f32_e64 s[38:39], v26, v26                         // 00000000738C: D0480026 0002351A
	v_add3_u32 v28, v26, v31, 1                                // 000000007394: D1FF001C 02063F1A
	v_cndmask_b32_e64 v20, v28, v30, s[38:39]                  // 00000000739C: D1000014 009A3D1C
	v_cmp_u_f32_e64 s[38:39], v27, v27                         // 0000000073A4: D0480026 0002371B
	v_add3_u32 v28, v27, v31, 1                                // 0000000073AC: D1FF001C 02063F1B
	v_cndmask_b32_e64 v21, v28, v30, s[38:39]                  // 0000000073B4: D1000015 009A3D1C
	v_perm_b32 v25, v21, v20, s52                              // 0000000073BC: D1ED0019 00D22915
	ds_write_b64 v5, v[24:25] offset:2304                      // 0000000073C4: D89A0900 00001805
	v_mov_b32_e32 v24, v57                                     // 0000000073CC: 7E300339
	v_mov_b32_e32 v25, v61                                     // 0000000073D0: 7E32033D
	v_mov_b32_e32 v26, v65                                     // 0000000073D4: 7E340341
	v_mov_b32_e32 v27, v69                                     // 0000000073D8: 7E360345
	v_cmp_u_f32_e64 s[38:39], v24, v24                         // 0000000073DC: D0480026 00023118
	v_add3_u32 v28, v24, v31, 1                                // 0000000073E4: D1FF001C 02063F18
	v_cndmask_b32_e64 v20, v28, v30, s[38:39]                  // 0000000073EC: D1000014 009A3D1C
	v_cmp_u_f32_e64 s[38:39], v25, v25                         // 0000000073F4: D0480026 00023319
	v_add3_u32 v28, v25, v31, 1                                // 0000000073FC: D1FF001C 02063F19
	v_cndmask_b32_e64 v21, v28, v30, s[38:39]                  // 000000007404: D1000015 009A3D1C
	v_perm_b32 v24, v21, v20, s52                              // 00000000740C: D1ED0018 00D22915
	v_cmp_u_f32_e64 s[38:39], v26, v26                         // 000000007414: D0480026 0002351A
	v_add3_u32 v28, v26, v31, 1                                // 00000000741C: D1FF001C 02063F1A
	v_cndmask_b32_e64 v20, v28, v30, s[38:39]                  // 000000007424: D1000014 009A3D1C
	v_cmp_u_f32_e64 s[38:39], v27, v27                         // 00000000742C: D0480026 0002371B
	v_add3_u32 v28, v27, v31, 1                                // 000000007434: D1FF001C 02063F1B
	v_cndmask_b32_e64 v21, v28, v30, s[38:39]                  // 00000000743C: D1000015 009A3D1C
	v_perm_b32 v25, v21, v20, s52                              // 000000007444: D1ED0019 00D22915
	ds_write_b64 v5, v[24:25] offset:3456                      // 00000000744C: D89A0D80 00001805
	v_mov_b32_e32 v24, v58                                     // 000000007454: 7E30033A
	v_mov_b32_e32 v25, v62                                     // 000000007458: 7E32033E
	v_mov_b32_e32 v26, v66                                     // 00000000745C: 7E340342
	v_mov_b32_e32 v27, v70                                     // 000000007460: 7E360346
	v_cmp_u_f32_e64 s[38:39], v24, v24                         // 000000007464: D0480026 00023118
	v_add3_u32 v28, v24, v31, 1                                // 00000000746C: D1FF001C 02063F18
	v_cndmask_b32_e64 v20, v28, v30, s[38:39]                  // 000000007474: D1000014 009A3D1C
	v_cmp_u_f32_e64 s[38:39], v25, v25                         // 00000000747C: D0480026 00023319
	v_add3_u32 v28, v25, v31, 1                                // 000000007484: D1FF001C 02063F19
	v_cndmask_b32_e64 v21, v28, v30, s[38:39]                  // 00000000748C: D1000015 009A3D1C
	v_perm_b32 v24, v21, v20, s52                              // 000000007494: D1ED0018 00D22915
	v_cmp_u_f32_e64 s[38:39], v26, v26                         // 00000000749C: D0480026 0002351A
	v_add3_u32 v28, v26, v31, 1                                // 0000000074A4: D1FF001C 02063F1A
	v_cndmask_b32_e64 v20, v28, v30, s[38:39]                  // 0000000074AC: D1000014 009A3D1C
	v_cmp_u_f32_e64 s[38:39], v27, v27                         // 0000000074B4: D0480026 0002371B
	v_add3_u32 v28, v27, v31, 1                                // 0000000074BC: D1FF001C 02063F1B
	v_cndmask_b32_e64 v21, v28, v30, s[38:39]                  // 0000000074C4: D1000015 009A3D1C
	v_perm_b32 v25, v21, v20, s52                              // 0000000074CC: D1ED0019 00D22915
	ds_write_b64 v5, v[24:25] offset:2448                      // 0000000074D4: D89A0990 00001805
	v_mov_b32_e32 v24, v59                                     // 0000000074DC: 7E30033B
	v_mov_b32_e32 v25, v63                                     // 0000000074E0: 7E32033F
	v_mov_b32_e32 v26, v67                                     // 0000000074E4: 7E340343
	v_mov_b32_e32 v27, v71                                     // 0000000074E8: 7E360347
	v_cmp_u_f32_e64 s[38:39], v24, v24                         // 0000000074EC: D0480026 00023118
	v_add3_u32 v28, v24, v31, 1                                // 0000000074F4: D1FF001C 02063F18
	v_cndmask_b32_e64 v20, v28, v30, s[38:39]                  // 0000000074FC: D1000014 009A3D1C
	v_cmp_u_f32_e64 s[38:39], v25, v25                         // 000000007504: D0480026 00023319
	v_add3_u32 v28, v25, v31, 1                                // 00000000750C: D1FF001C 02063F19
	v_cndmask_b32_e64 v21, v28, v30, s[38:39]                  // 000000007514: D1000015 009A3D1C
	v_perm_b32 v24, v21, v20, s52                              // 00000000751C: D1ED0018 00D22915
	v_cmp_u_f32_e64 s[38:39], v26, v26                         // 000000007524: D0480026 0002351A
	v_add3_u32 v28, v26, v31, 1                                // 00000000752C: D1FF001C 02063F1A
	v_cndmask_b32_e64 v20, v28, v30, s[38:39]                  // 000000007534: D1000014 009A3D1C
	v_cmp_u_f32_e64 s[38:39], v27, v27                         // 00000000753C: D0480026 0002371B
	v_add3_u32 v28, v27, v31, 1                                // 000000007544: D1FF001C 02063F1B
	v_cndmask_b32_e64 v21, v28, v30, s[38:39]                  // 00000000754C: D1000015 009A3D1C
	v_perm_b32 v25, v21, v20, s52                              // 000000007554: D1ED0019 00D22915
	ds_write_b64 v5, v[24:25] offset:3600                      // 00000000755C: D89A0E10 00001805
	s_waitcnt lgkmcnt(4)                                       // 000000007564: BF8CC47F
	ds_read_b64 v[40:41], v4                                   // 000000007568: D8EC0000 28000004
	ds_read_b64 v[44:45], v4 offset:64                         // 000000007570: D8EC0040 2C000004
	ds_read_b64 v[42:43], v4 offset:1152                       // 000000007578: D8EC0480 2A000004
	ds_read_b64 v[46:47], v4 offset:1216                       // 000000007580: D8EC04C0 2E000004
	s_waitcnt lgkmcnt(4)                                       // 000000007588: BF8CC47F
	ds_read_b64 v[48:49], v4 offset:2304                       // 00000000758C: D8EC0900 30000004
	ds_read_b64 v[52:53], v4 offset:2368                       // 000000007594: D8EC0940 34000004
	ds_read_b64 v[50:51], v4 offset:3456                       // 00000000759C: D8EC0D80 32000004
	ds_read_b64 v[54:55], v4 offset:3520                       // 0000000075A4: D8EC0DC0 36000004
	s_waitcnt lgkmcnt(0)                                       // 0000000075AC: BF8CC07F
	v_mov_b32_e32 v18, v19                                     // 0000000075B0: 7E240313
	buffer_store_dwordx4 v[40:43], v18, s[88:91], 0 offen      // 0000000075B4: E07C1000 80162812
	buffer_store_dwordx4 v[48:51], v18, s[88:91], 0 offen offset:128// 0000000075BC: E07C1080 80163012
	v_add_u32_e32 v18, 0x2000, v18                             // 0000000075C4: 682424FF 00002000
	buffer_store_dwordx4 v[44:47], v18, s[88:91], 0 offen      // 0000000075CC: E07C1000 80162C12
	buffer_store_dwordx4 v[52:55], v18, s[88:91], 0 offen offset:128// 0000000075D4: E07C1080 80163412
	v_add_u32_e32 v18, 0x2000, v18                             // 0000000075DC: 682424FF 00002000
	v_mov_b32_e32 v24, v72                                     // 0000000075E4: 7E300348
	v_mov_b32_e32 v25, v76                                     // 0000000075E8: 7E32034C
	v_mov_b32_e32 v26, v80                                     // 0000000075EC: 7E340350
	v_mov_b32_e32 v27, v84                                     // 0000000075F0: 7E360354
	v_cmp_u_f32_e64 s[38:39], v24, v24                         // 0000000075F4: D0480026 00023118
	v_add3_u32 v28, v24, v31, 1                                // 0000000075FC: D1FF001C 02063F18
	v_cndmask_b32_e64 v20, v28, v30, s[38:39]                  // 000000007604: D1000014 009A3D1C
	v_cmp_u_f32_e64 s[38:39], v25, v25                         // 00000000760C: D0480026 00023319
	v_add3_u32 v28, v25, v31, 1                                // 000000007614: D1FF001C 02063F19
	v_cndmask_b32_e64 v21, v28, v30, s[38:39]                  // 00000000761C: D1000015 009A3D1C
	v_perm_b32 v24, v21, v20, s52                              // 000000007624: D1ED0018 00D22915
	v_cmp_u_f32_e64 s[38:39], v26, v26                         // 00000000762C: D0480026 0002351A
	v_add3_u32 v28, v26, v31, 1                                // 000000007634: D1FF001C 02063F1A
	v_cndmask_b32_e64 v20, v28, v30, s[38:39]                  // 00000000763C: D1000014 009A3D1C
	v_cmp_u_f32_e64 s[38:39], v27, v27                         // 000000007644: D0480026 0002371B
	v_add3_u32 v28, v27, v31, 1                                // 00000000764C: D1FF001C 02063F1B
	v_cndmask_b32_e64 v21, v28, v30, s[38:39]                  // 000000007654: D1000015 009A3D1C
	v_perm_b32 v25, v21, v20, s52                              // 00000000765C: D1ED0019 00D22915
	ds_write_b64 v5, v[24:25]                                  // 000000007664: D89A0000 00001805
	v_mov_b32_e32 v24, v73                                     // 00000000766C: 7E300349
	v_mov_b32_e32 v25, v77                                     // 000000007670: 7E32034D
	v_mov_b32_e32 v26, v81                                     // 000000007674: 7E340351
	v_mov_b32_e32 v27, v85                                     // 000000007678: 7E360355
	v_cmp_u_f32_e64 s[38:39], v24, v24                         // 00000000767C: D0480026 00023118
	v_add3_u32 v28, v24, v31, 1                                // 000000007684: D1FF001C 02063F18
	v_cndmask_b32_e64 v20, v28, v30, s[38:39]                  // 00000000768C: D1000014 009A3D1C
	v_cmp_u_f32_e64 s[38:39], v25, v25                         // 000000007694: D0480026 00023319
	v_add3_u32 v28, v25, v31, 1                                // 00000000769C: D1FF001C 02063F19
	v_cndmask_b32_e64 v21, v28, v30, s[38:39]                  // 0000000076A4: D1000015 009A3D1C
	v_perm_b32 v24, v21, v20, s52                              // 0000000076AC: D1ED0018 00D22915
	v_cmp_u_f32_e64 s[38:39], v26, v26                         // 0000000076B4: D0480026 0002351A
	v_add3_u32 v28, v26, v31, 1                                // 0000000076BC: D1FF001C 02063F1A
	v_cndmask_b32_e64 v20, v28, v30, s[38:39]                  // 0000000076C4: D1000014 009A3D1C
	v_cmp_u_f32_e64 s[38:39], v27, v27                         // 0000000076CC: D0480026 0002371B
	v_add3_u32 v28, v27, v31, 1                                // 0000000076D4: D1FF001C 02063F1B
	v_cndmask_b32_e64 v21, v28, v30, s[38:39]                  // 0000000076DC: D1000015 009A3D1C
	v_perm_b32 v25, v21, v20, s52                              // 0000000076E4: D1ED0019 00D22915
	ds_write_b64 v5, v[24:25] offset:1152                      // 0000000076EC: D89A0480 00001805
	v_mov_b32_e32 v24, v74                                     // 0000000076F4: 7E30034A
	v_mov_b32_e32 v25, v78                                     // 0000000076F8: 7E32034E
	v_mov_b32_e32 v26, v82                                     // 0000000076FC: 7E340352
	v_mov_b32_e32 v27, v86                                     // 000000007700: 7E360356
	v_cmp_u_f32_e64 s[38:39], v24, v24                         // 000000007704: D0480026 00023118
	v_add3_u32 v28, v24, v31, 1                                // 00000000770C: D1FF001C 02063F18
	v_cndmask_b32_e64 v20, v28, v30, s[38:39]                  // 000000007714: D1000014 009A3D1C
	v_cmp_u_f32_e64 s[38:39], v25, v25                         // 00000000771C: D0480026 00023319
	v_add3_u32 v28, v25, v31, 1                                // 000000007724: D1FF001C 02063F19
	v_cndmask_b32_e64 v21, v28, v30, s[38:39]                  // 00000000772C: D1000015 009A3D1C
	v_perm_b32 v24, v21, v20, s52                              // 000000007734: D1ED0018 00D22915
	v_cmp_u_f32_e64 s[38:39], v26, v26                         // 00000000773C: D0480026 0002351A
	v_add3_u32 v28, v26, v31, 1                                // 000000007744: D1FF001C 02063F1A
	v_cndmask_b32_e64 v20, v28, v30, s[38:39]                  // 00000000774C: D1000014 009A3D1C
	v_cmp_u_f32_e64 s[38:39], v27, v27                         // 000000007754: D0480026 0002371B
	v_add3_u32 v28, v27, v31, 1                                // 00000000775C: D1FF001C 02063F1B
	v_cndmask_b32_e64 v21, v28, v30, s[38:39]                  // 000000007764: D1000015 009A3D1C
	v_perm_b32 v25, v21, v20, s52                              // 00000000776C: D1ED0019 00D22915
	ds_write_b64 v5, v[24:25] offset:144                       // 000000007774: D89A0090 00001805
	v_mov_b32_e32 v24, v75                                     // 00000000777C: 7E30034B
	v_mov_b32_e32 v25, v79                                     // 000000007780: 7E32034F
	v_mov_b32_e32 v26, v83                                     // 000000007784: 7E340353
	v_mov_b32_e32 v27, v87                                     // 000000007788: 7E360357
	v_cmp_u_f32_e64 s[38:39], v24, v24                         // 00000000778C: D0480026 00023118
	v_add3_u32 v28, v24, v31, 1                                // 000000007794: D1FF001C 02063F18
	v_cndmask_b32_e64 v20, v28, v30, s[38:39]                  // 00000000779C: D1000014 009A3D1C
	v_cmp_u_f32_e64 s[38:39], v25, v25                         // 0000000077A4: D0480026 00023319
	v_add3_u32 v28, v25, v31, 1                                // 0000000077AC: D1FF001C 02063F19
	v_cndmask_b32_e64 v21, v28, v30, s[38:39]                  // 0000000077B4: D1000015 009A3D1C
	v_perm_b32 v24, v21, v20, s52                              // 0000000077BC: D1ED0018 00D22915
	v_cmp_u_f32_e64 s[38:39], v26, v26                         // 0000000077C4: D0480026 0002351A
	v_add3_u32 v28, v26, v31, 1                                // 0000000077CC: D1FF001C 02063F1A
	v_cndmask_b32_e64 v20, v28, v30, s[38:39]                  // 0000000077D4: D1000014 009A3D1C
	v_cmp_u_f32_e64 s[38:39], v27, v27                         // 0000000077DC: D0480026 0002371B
	v_add3_u32 v28, v27, v31, 1                                // 0000000077E4: D1FF001C 02063F1B
	v_cndmask_b32_e64 v21, v28, v30, s[38:39]                  // 0000000077EC: D1000015 009A3D1C
	v_perm_b32 v25, v21, v20, s52                              // 0000000077F4: D1ED0019 00D22915
	ds_write_b64 v5, v[24:25] offset:1296                      // 0000000077FC: D89A0510 00001805
	v_mov_b32_e32 v24, v88                                     // 000000007804: 7E300358
	v_mov_b32_e32 v25, v92                                     // 000000007808: 7E32035C
	v_mov_b32_e32 v26, v96                                     // 00000000780C: 7E340360
	v_mov_b32_e32 v27, v100                                    // 000000007810: 7E360364
	v_cmp_u_f32_e64 s[38:39], v24, v24                         // 000000007814: D0480026 00023118
	v_add3_u32 v28, v24, v31, 1                                // 00000000781C: D1FF001C 02063F18
	v_cndmask_b32_e64 v20, v28, v30, s[38:39]                  // 000000007824: D1000014 009A3D1C
	v_cmp_u_f32_e64 s[38:39], v25, v25                         // 00000000782C: D0480026 00023319
	v_add3_u32 v28, v25, v31, 1                                // 000000007834: D1FF001C 02063F19
	v_cndmask_b32_e64 v21, v28, v30, s[38:39]                  // 00000000783C: D1000015 009A3D1C
	v_perm_b32 v24, v21, v20, s52                              // 000000007844: D1ED0018 00D22915
	v_cmp_u_f32_e64 s[38:39], v26, v26                         // 00000000784C: D0480026 0002351A
	v_add3_u32 v28, v26, v31, 1                                // 000000007854: D1FF001C 02063F1A
	v_cndmask_b32_e64 v20, v28, v30, s[38:39]                  // 00000000785C: D1000014 009A3D1C
	v_cmp_u_f32_e64 s[38:39], v27, v27                         // 000000007864: D0480026 0002371B
	v_add3_u32 v28, v27, v31, 1                                // 00000000786C: D1FF001C 02063F1B
	v_cndmask_b32_e64 v21, v28, v30, s[38:39]                  // 000000007874: D1000015 009A3D1C
	v_perm_b32 v25, v21, v20, s52                              // 00000000787C: D1ED0019 00D22915
	ds_write_b64 v5, v[24:25] offset:2304                      // 000000007884: D89A0900 00001805
	v_mov_b32_e32 v24, v89                                     // 00000000788C: 7E300359
	v_mov_b32_e32 v25, v93                                     // 000000007890: 7E32035D
	v_mov_b32_e32 v26, v97                                     // 000000007894: 7E340361
	v_mov_b32_e32 v27, v101                                    // 000000007898: 7E360365
	v_cmp_u_f32_e64 s[38:39], v24, v24                         // 00000000789C: D0480026 00023118
	v_add3_u32 v28, v24, v31, 1                                // 0000000078A4: D1FF001C 02063F18
	v_cndmask_b32_e64 v20, v28, v30, s[38:39]                  // 0000000078AC: D1000014 009A3D1C
	v_cmp_u_f32_e64 s[38:39], v25, v25                         // 0000000078B4: D0480026 00023319
	v_add3_u32 v28, v25, v31, 1                                // 0000000078BC: D1FF001C 02063F19
	v_cndmask_b32_e64 v21, v28, v30, s[38:39]                  // 0000000078C4: D1000015 009A3D1C
	v_perm_b32 v24, v21, v20, s52                              // 0000000078CC: D1ED0018 00D22915
	v_cmp_u_f32_e64 s[38:39], v26, v26                         // 0000000078D4: D0480026 0002351A
	v_add3_u32 v28, v26, v31, 1                                // 0000000078DC: D1FF001C 02063F1A
	v_cndmask_b32_e64 v20, v28, v30, s[38:39]                  // 0000000078E4: D1000014 009A3D1C
	v_cmp_u_f32_e64 s[38:39], v27, v27                         // 0000000078EC: D0480026 0002371B
	v_add3_u32 v28, v27, v31, 1                                // 0000000078F4: D1FF001C 02063F1B
	v_cndmask_b32_e64 v21, v28, v30, s[38:39]                  // 0000000078FC: D1000015 009A3D1C
	v_perm_b32 v25, v21, v20, s52                              // 000000007904: D1ED0019 00D22915
	ds_write_b64 v5, v[24:25] offset:3456                      // 00000000790C: D89A0D80 00001805
	v_mov_b32_e32 v24, v90                                     // 000000007914: 7E30035A
	v_mov_b32_e32 v25, v94                                     // 000000007918: 7E32035E
	v_mov_b32_e32 v26, v98                                     // 00000000791C: 7E340362
	v_mov_b32_e32 v27, v102                                    // 000000007920: 7E360366
	v_cmp_u_f32_e64 s[38:39], v24, v24                         // 000000007924: D0480026 00023118
	v_add3_u32 v28, v24, v31, 1                                // 00000000792C: D1FF001C 02063F18
	v_cndmask_b32_e64 v20, v28, v30, s[38:39]                  // 000000007934: D1000014 009A3D1C
	v_cmp_u_f32_e64 s[38:39], v25, v25                         // 00000000793C: D0480026 00023319
	v_add3_u32 v28, v25, v31, 1                                // 000000007944: D1FF001C 02063F19
	v_cndmask_b32_e64 v21, v28, v30, s[38:39]                  // 00000000794C: D1000015 009A3D1C
	v_perm_b32 v24, v21, v20, s52                              // 000000007954: D1ED0018 00D22915
	v_cmp_u_f32_e64 s[38:39], v26, v26                         // 00000000795C: D0480026 0002351A
	v_add3_u32 v28, v26, v31, 1                                // 000000007964: D1FF001C 02063F1A
	v_cndmask_b32_e64 v20, v28, v30, s[38:39]                  // 00000000796C: D1000014 009A3D1C
	v_cmp_u_f32_e64 s[38:39], v27, v27                         // 000000007974: D0480026 0002371B
	v_add3_u32 v28, v27, v31, 1                                // 00000000797C: D1FF001C 02063F1B
	v_cndmask_b32_e64 v21, v28, v30, s[38:39]                  // 000000007984: D1000015 009A3D1C
	v_perm_b32 v25, v21, v20, s52                              // 00000000798C: D1ED0019 00D22915
	ds_write_b64 v5, v[24:25] offset:2448                      // 000000007994: D89A0990 00001805
	v_mov_b32_e32 v24, v91                                     // 00000000799C: 7E30035B
	v_mov_b32_e32 v25, v95                                     // 0000000079A0: 7E32035F
	v_mov_b32_e32 v26, v99                                     // 0000000079A4: 7E340363
	v_mov_b32_e32 v27, v103                                    // 0000000079A8: 7E360367
	v_cmp_u_f32_e64 s[38:39], v24, v24                         // 0000000079AC: D0480026 00023118
	v_add3_u32 v28, v24, v31, 1                                // 0000000079B4: D1FF001C 02063F18
	v_cndmask_b32_e64 v20, v28, v30, s[38:39]                  // 0000000079BC: D1000014 009A3D1C
	v_cmp_u_f32_e64 s[38:39], v25, v25                         // 0000000079C4: D0480026 00023319
	v_add3_u32 v28, v25, v31, 1                                // 0000000079CC: D1FF001C 02063F19
	v_cndmask_b32_e64 v21, v28, v30, s[38:39]                  // 0000000079D4: D1000015 009A3D1C
	v_perm_b32 v24, v21, v20, s52                              // 0000000079DC: D1ED0018 00D22915
	v_cmp_u_f32_e64 s[38:39], v26, v26                         // 0000000079E4: D0480026 0002351A
	v_add3_u32 v28, v26, v31, 1                                // 0000000079EC: D1FF001C 02063F1A
	v_cndmask_b32_e64 v20, v28, v30, s[38:39]                  // 0000000079F4: D1000014 009A3D1C
	v_cmp_u_f32_e64 s[38:39], v27, v27                         // 0000000079FC: D0480026 0002371B
	v_add3_u32 v28, v27, v31, 1                                // 000000007A04: D1FF001C 02063F1B
	v_cndmask_b32_e64 v21, v28, v30, s[38:39]                  // 000000007A0C: D1000015 009A3D1C
	v_perm_b32 v25, v21, v20, s52                              // 000000007A14: D1ED0019 00D22915
	ds_write_b64 v5, v[24:25] offset:3600                      // 000000007A1C: D89A0E10 00001805
	s_waitcnt lgkmcnt(4)                                       // 000000007A24: BF8CC47F
	ds_read_b64 v[40:41], v4                                   // 000000007A28: D8EC0000 28000004
	ds_read_b64 v[44:45], v4 offset:64                         // 000000007A30: D8EC0040 2C000004
	ds_read_b64 v[42:43], v4 offset:1152                       // 000000007A38: D8EC0480 2A000004
	ds_read_b64 v[46:47], v4 offset:1216                       // 000000007A40: D8EC04C0 2E000004
	s_waitcnt lgkmcnt(4)                                       // 000000007A48: BF8CC47F
	ds_read_b64 v[48:49], v4 offset:2304                       // 000000007A4C: D8EC0900 30000004
	ds_read_b64 v[52:53], v4 offset:2368                       // 000000007A54: D8EC0940 34000004
	ds_read_b64 v[50:51], v4 offset:3456                       // 000000007A5C: D8EC0D80 32000004
	ds_read_b64 v[54:55], v4 offset:3520                       // 000000007A64: D8EC0DC0 36000004
	s_waitcnt lgkmcnt(0)                                       // 000000007A6C: BF8CC07F
	v_mov_b32_e32 v18, v19                                     // 000000007A70: 7E240313
	buffer_store_dwordx4 v[40:43], v18, s[88:91], 0 offen offset:256// 000000007A74: E07C1100 80162812
	buffer_store_dwordx4 v[48:51], v18, s[88:91], 0 offen offset:384// 000000007A7C: E07C1180 80163012
	v_add_u32_e32 v18, 0x2000, v18                             // 000000007A84: 682424FF 00002000
	buffer_store_dwordx4 v[44:47], v18, s[88:91], 0 offen offset:256// 000000007A8C: E07C1100 80162C12
	buffer_store_dwordx4 v[52:55], v18, s[88:91], 0 offen offset:384// 000000007A94: E07C1180 80163412
	v_add_u32_e32 v18, 0x2000, v18                             // 000000007A9C: 682424FF 00002000
	v_mov_b32_e32 v24, v104                                    // 000000007AA4: 7E300368
	v_mov_b32_e32 v25, v108                                    // 000000007AA8: 7E32036C
	v_mov_b32_e32 v26, v112                                    // 000000007AAC: 7E340370
	v_mov_b32_e32 v27, v116                                    // 000000007AB0: 7E360374
	v_cmp_u_f32_e64 s[38:39], v24, v24                         // 000000007AB4: D0480026 00023118
	v_add3_u32 v28, v24, v31, 1                                // 000000007ABC: D1FF001C 02063F18
	v_cndmask_b32_e64 v20, v28, v30, s[38:39]                  // 000000007AC4: D1000014 009A3D1C
	v_cmp_u_f32_e64 s[38:39], v25, v25                         // 000000007ACC: D0480026 00023319
	v_add3_u32 v28, v25, v31, 1                                // 000000007AD4: D1FF001C 02063F19
	v_cndmask_b32_e64 v21, v28, v30, s[38:39]                  // 000000007ADC: D1000015 009A3D1C
	v_perm_b32 v24, v21, v20, s52                              // 000000007AE4: D1ED0018 00D22915
	v_cmp_u_f32_e64 s[38:39], v26, v26                         // 000000007AEC: D0480026 0002351A
	v_add3_u32 v28, v26, v31, 1                                // 000000007AF4: D1FF001C 02063F1A
	v_cndmask_b32_e64 v20, v28, v30, s[38:39]                  // 000000007AFC: D1000014 009A3D1C
	v_cmp_u_f32_e64 s[38:39], v27, v27                         // 000000007B04: D0480026 0002371B
	v_add3_u32 v28, v27, v31, 1                                // 000000007B0C: D1FF001C 02063F1B
	v_cndmask_b32_e64 v21, v28, v30, s[38:39]                  // 000000007B14: D1000015 009A3D1C
	v_perm_b32 v25, v21, v20, s52                              // 000000007B1C: D1ED0019 00D22915
	ds_write_b64 v5, v[24:25]                                  // 000000007B24: D89A0000 00001805
	v_mov_b32_e32 v24, v105                                    // 000000007B2C: 7E300369
	v_mov_b32_e32 v25, v109                                    // 000000007B30: 7E32036D
	v_mov_b32_e32 v26, v113                                    // 000000007B34: 7E340371
	v_mov_b32_e32 v27, v117                                    // 000000007B38: 7E360375
	v_cmp_u_f32_e64 s[38:39], v24, v24                         // 000000007B3C: D0480026 00023118
	v_add3_u32 v28, v24, v31, 1                                // 000000007B44: D1FF001C 02063F18
	v_cndmask_b32_e64 v20, v28, v30, s[38:39]                  // 000000007B4C: D1000014 009A3D1C
	v_cmp_u_f32_e64 s[38:39], v25, v25                         // 000000007B54: D0480026 00023319
	v_add3_u32 v28, v25, v31, 1                                // 000000007B5C: D1FF001C 02063F19
	v_cndmask_b32_e64 v21, v28, v30, s[38:39]                  // 000000007B64: D1000015 009A3D1C
	v_perm_b32 v24, v21, v20, s52                              // 000000007B6C: D1ED0018 00D22915
	v_cmp_u_f32_e64 s[38:39], v26, v26                         // 000000007B74: D0480026 0002351A
	v_add3_u32 v28, v26, v31, 1                                // 000000007B7C: D1FF001C 02063F1A
	v_cndmask_b32_e64 v20, v28, v30, s[38:39]                  // 000000007B84: D1000014 009A3D1C
	v_cmp_u_f32_e64 s[38:39], v27, v27                         // 000000007B8C: D0480026 0002371B
	v_add3_u32 v28, v27, v31, 1                                // 000000007B94: D1FF001C 02063F1B
	v_cndmask_b32_e64 v21, v28, v30, s[38:39]                  // 000000007B9C: D1000015 009A3D1C
	v_perm_b32 v25, v21, v20, s52                              // 000000007BA4: D1ED0019 00D22915
	ds_write_b64 v5, v[24:25] offset:1152                      // 000000007BAC: D89A0480 00001805
	v_mov_b32_e32 v24, v106                                    // 000000007BB4: 7E30036A
	v_mov_b32_e32 v25, v110                                    // 000000007BB8: 7E32036E
	v_mov_b32_e32 v26, v114                                    // 000000007BBC: 7E340372
	v_mov_b32_e32 v27, v118                                    // 000000007BC0: 7E360376
	v_cmp_u_f32_e64 s[38:39], v24, v24                         // 000000007BC4: D0480026 00023118
	v_add3_u32 v28, v24, v31, 1                                // 000000007BCC: D1FF001C 02063F18
	v_cndmask_b32_e64 v20, v28, v30, s[38:39]                  // 000000007BD4: D1000014 009A3D1C
	v_cmp_u_f32_e64 s[38:39], v25, v25                         // 000000007BDC: D0480026 00023319
	v_add3_u32 v28, v25, v31, 1                                // 000000007BE4: D1FF001C 02063F19
	v_cndmask_b32_e64 v21, v28, v30, s[38:39]                  // 000000007BEC: D1000015 009A3D1C
	v_perm_b32 v24, v21, v20, s52                              // 000000007BF4: D1ED0018 00D22915
	v_cmp_u_f32_e64 s[38:39], v26, v26                         // 000000007BFC: D0480026 0002351A
	v_add3_u32 v28, v26, v31, 1                                // 000000007C04: D1FF001C 02063F1A
	v_cndmask_b32_e64 v20, v28, v30, s[38:39]                  // 000000007C0C: D1000014 009A3D1C
	v_cmp_u_f32_e64 s[38:39], v27, v27                         // 000000007C14: D0480026 0002371B
	v_add3_u32 v28, v27, v31, 1                                // 000000007C1C: D1FF001C 02063F1B
	v_cndmask_b32_e64 v21, v28, v30, s[38:39]                  // 000000007C24: D1000015 009A3D1C
	v_perm_b32 v25, v21, v20, s52                              // 000000007C2C: D1ED0019 00D22915
	ds_write_b64 v5, v[24:25] offset:144                       // 000000007C34: D89A0090 00001805
	v_mov_b32_e32 v24, v107                                    // 000000007C3C: 7E30036B
	v_mov_b32_e32 v25, v111                                    // 000000007C40: 7E32036F
	v_mov_b32_e32 v26, v115                                    // 000000007C44: 7E340373
	v_mov_b32_e32 v27, v119                                    // 000000007C48: 7E360377
	v_cmp_u_f32_e64 s[38:39], v24, v24                         // 000000007C4C: D0480026 00023118
	v_add3_u32 v28, v24, v31, 1                                // 000000007C54: D1FF001C 02063F18
	v_cndmask_b32_e64 v20, v28, v30, s[38:39]                  // 000000007C5C: D1000014 009A3D1C
	v_cmp_u_f32_e64 s[38:39], v25, v25                         // 000000007C64: D0480026 00023319
	v_add3_u32 v28, v25, v31, 1                                // 000000007C6C: D1FF001C 02063F19
	v_cndmask_b32_e64 v21, v28, v30, s[38:39]                  // 000000007C74: D1000015 009A3D1C
	v_perm_b32 v24, v21, v20, s52                              // 000000007C7C: D1ED0018 00D22915
	v_cmp_u_f32_e64 s[38:39], v26, v26                         // 000000007C84: D0480026 0002351A
	v_add3_u32 v28, v26, v31, 1                                // 000000007C8C: D1FF001C 02063F1A
	v_cndmask_b32_e64 v20, v28, v30, s[38:39]                  // 000000007C94: D1000014 009A3D1C
	v_cmp_u_f32_e64 s[38:39], v27, v27                         // 000000007C9C: D0480026 0002371B
	v_add3_u32 v28, v27, v31, 1                                // 000000007CA4: D1FF001C 02063F1B
	v_cndmask_b32_e64 v21, v28, v30, s[38:39]                  // 000000007CAC: D1000015 009A3D1C
	v_perm_b32 v25, v21, v20, s52                              // 000000007CB4: D1ED0019 00D22915
	ds_write_b64 v5, v[24:25] offset:1296                      // 000000007CBC: D89A0510 00001805
	v_mov_b32_e32 v24, v120                                    // 000000007CC4: 7E300378
	v_mov_b32_e32 v25, v124                                    // 000000007CC8: 7E32037C
	v_mov_b32_e32 v26, v128                                    // 000000007CCC: 7E340380
	v_mov_b32_e32 v27, v132                                    // 000000007CD0: 7E360384
	v_cmp_u_f32_e64 s[38:39], v24, v24                         // 000000007CD4: D0480026 00023118
	v_add3_u32 v28, v24, v31, 1                                // 000000007CDC: D1FF001C 02063F18
	v_cndmask_b32_e64 v20, v28, v30, s[38:39]                  // 000000007CE4: D1000014 009A3D1C
	v_cmp_u_f32_e64 s[38:39], v25, v25                         // 000000007CEC: D0480026 00023319
	v_add3_u32 v28, v25, v31, 1                                // 000000007CF4: D1FF001C 02063F19
	v_cndmask_b32_e64 v21, v28, v30, s[38:39]                  // 000000007CFC: D1000015 009A3D1C
	v_perm_b32 v24, v21, v20, s52                              // 000000007D04: D1ED0018 00D22915
	v_cmp_u_f32_e64 s[38:39], v26, v26                         // 000000007D0C: D0480026 0002351A
	v_add3_u32 v28, v26, v31, 1                                // 000000007D14: D1FF001C 02063F1A
	v_cndmask_b32_e64 v20, v28, v30, s[38:39]                  // 000000007D1C: D1000014 009A3D1C
	v_cmp_u_f32_e64 s[38:39], v27, v27                         // 000000007D24: D0480026 0002371B
	v_add3_u32 v28, v27, v31, 1                                // 000000007D2C: D1FF001C 02063F1B
	v_cndmask_b32_e64 v21, v28, v30, s[38:39]                  // 000000007D34: D1000015 009A3D1C
	v_perm_b32 v25, v21, v20, s52                              // 000000007D3C: D1ED0019 00D22915
	ds_write_b64 v5, v[24:25] offset:2304                      // 000000007D44: D89A0900 00001805
	v_mov_b32_e32 v24, v121                                    // 000000007D4C: 7E300379
	v_mov_b32_e32 v25, v125                                    // 000000007D50: 7E32037D
	v_mov_b32_e32 v26, v129                                    // 000000007D54: 7E340381
	v_mov_b32_e32 v27, v133                                    // 000000007D58: 7E360385
	v_cmp_u_f32_e64 s[38:39], v24, v24                         // 000000007D5C: D0480026 00023118
	v_add3_u32 v28, v24, v31, 1                                // 000000007D64: D1FF001C 02063F18
	v_cndmask_b32_e64 v20, v28, v30, s[38:39]                  // 000000007D6C: D1000014 009A3D1C
	v_cmp_u_f32_e64 s[38:39], v25, v25                         // 000000007D74: D0480026 00023319
	v_add3_u32 v28, v25, v31, 1                                // 000000007D7C: D1FF001C 02063F19
	v_cndmask_b32_e64 v21, v28, v30, s[38:39]                  // 000000007D84: D1000015 009A3D1C
	v_perm_b32 v24, v21, v20, s52                              // 000000007D8C: D1ED0018 00D22915
	v_cmp_u_f32_e64 s[38:39], v26, v26                         // 000000007D94: D0480026 0002351A
	v_add3_u32 v28, v26, v31, 1                                // 000000007D9C: D1FF001C 02063F1A
	v_cndmask_b32_e64 v20, v28, v30, s[38:39]                  // 000000007DA4: D1000014 009A3D1C
	v_cmp_u_f32_e64 s[38:39], v27, v27                         // 000000007DAC: D0480026 0002371B
	v_add3_u32 v28, v27, v31, 1                                // 000000007DB4: D1FF001C 02063F1B
	v_cndmask_b32_e64 v21, v28, v30, s[38:39]                  // 000000007DBC: D1000015 009A3D1C
	v_perm_b32 v25, v21, v20, s52                              // 000000007DC4: D1ED0019 00D22915
	ds_write_b64 v5, v[24:25] offset:3456                      // 000000007DCC: D89A0D80 00001805
	v_mov_b32_e32 v24, v122                                    // 000000007DD4: 7E30037A
	v_mov_b32_e32 v25, v126                                    // 000000007DD8: 7E32037E
	v_mov_b32_e32 v26, v130                                    // 000000007DDC: 7E340382
	v_mov_b32_e32 v27, v134                                    // 000000007DE0: 7E360386
	v_cmp_u_f32_e64 s[38:39], v24, v24                         // 000000007DE4: D0480026 00023118
	v_add3_u32 v28, v24, v31, 1                                // 000000007DEC: D1FF001C 02063F18
	v_cndmask_b32_e64 v20, v28, v30, s[38:39]                  // 000000007DF4: D1000014 009A3D1C
	v_cmp_u_f32_e64 s[38:39], v25, v25                         // 000000007DFC: D0480026 00023319
	v_add3_u32 v28, v25, v31, 1                                // 000000007E04: D1FF001C 02063F19
	v_cndmask_b32_e64 v21, v28, v30, s[38:39]                  // 000000007E0C: D1000015 009A3D1C
	v_perm_b32 v24, v21, v20, s52                              // 000000007E14: D1ED0018 00D22915
	v_cmp_u_f32_e64 s[38:39], v26, v26                         // 000000007E1C: D0480026 0002351A
	v_add3_u32 v28, v26, v31, 1                                // 000000007E24: D1FF001C 02063F1A
	v_cndmask_b32_e64 v20, v28, v30, s[38:39]                  // 000000007E2C: D1000014 009A3D1C
	v_cmp_u_f32_e64 s[38:39], v27, v27                         // 000000007E34: D0480026 0002371B
	v_add3_u32 v28, v27, v31, 1                                // 000000007E3C: D1FF001C 02063F1B
	v_cndmask_b32_e64 v21, v28, v30, s[38:39]                  // 000000007E44: D1000015 009A3D1C
	v_perm_b32 v25, v21, v20, s52                              // 000000007E4C: D1ED0019 00D22915
	ds_write_b64 v5, v[24:25] offset:2448                      // 000000007E54: D89A0990 00001805
	v_mov_b32_e32 v24, v123                                    // 000000007E5C: 7E30037B
	v_mov_b32_e32 v25, v127                                    // 000000007E60: 7E32037F
	v_mov_b32_e32 v26, v131                                    // 000000007E64: 7E340383
	v_mov_b32_e32 v27, v135                                    // 000000007E68: 7E360387
	v_cmp_u_f32_e64 s[38:39], v24, v24                         // 000000007E6C: D0480026 00023118
	v_add3_u32 v28, v24, v31, 1                                // 000000007E74: D1FF001C 02063F18
	v_cndmask_b32_e64 v20, v28, v30, s[38:39]                  // 000000007E7C: D1000014 009A3D1C
	v_cmp_u_f32_e64 s[38:39], v25, v25                         // 000000007E84: D0480026 00023319
	v_add3_u32 v28, v25, v31, 1                                // 000000007E8C: D1FF001C 02063F19
	v_cndmask_b32_e64 v21, v28, v30, s[38:39]                  // 000000007E94: D1000015 009A3D1C
	v_perm_b32 v24, v21, v20, s52                              // 000000007E9C: D1ED0018 00D22915
	v_cmp_u_f32_e64 s[38:39], v26, v26                         // 000000007EA4: D0480026 0002351A
	v_add3_u32 v28, v26, v31, 1                                // 000000007EAC: D1FF001C 02063F1A
	v_cndmask_b32_e64 v20, v28, v30, s[38:39]                  // 000000007EB4: D1000014 009A3D1C
	v_cmp_u_f32_e64 s[38:39], v27, v27                         // 000000007EBC: D0480026 0002371B
	v_add3_u32 v28, v27, v31, 1                                // 000000007EC4: D1FF001C 02063F1B
	v_cndmask_b32_e64 v21, v28, v30, s[38:39]                  // 000000007ECC: D1000015 009A3D1C
	v_perm_b32 v25, v21, v20, s52                              // 000000007ED4: D1ED0019 00D22915
	ds_write_b64 v5, v[24:25] offset:3600                      // 000000007EDC: D89A0E10 00001805
	s_waitcnt lgkmcnt(4)                                       // 000000007EE4: BF8CC47F
	ds_read_b64 v[40:41], v4                                   // 000000007EE8: D8EC0000 28000004
	ds_read_b64 v[44:45], v4 offset:64                         // 000000007EF0: D8EC0040 2C000004
	ds_read_b64 v[42:43], v4 offset:1152                       // 000000007EF8: D8EC0480 2A000004
	ds_read_b64 v[46:47], v4 offset:1216                       // 000000007F00: D8EC04C0 2E000004
	s_waitcnt lgkmcnt(4)                                       // 000000007F08: BF8CC47F
	ds_read_b64 v[48:49], v4 offset:2304                       // 000000007F0C: D8EC0900 30000004
	ds_read_b64 v[52:53], v4 offset:2368                       // 000000007F14: D8EC0940 34000004
	ds_read_b64 v[50:51], v4 offset:3456                       // 000000007F1C: D8EC0D80 32000004
	ds_read_b64 v[54:55], v4 offset:3520                       // 000000007F24: D8EC0DC0 36000004
	s_waitcnt lgkmcnt(0)                                       // 000000007F2C: BF8CC07F
	v_mov_b32_e32 v18, v19                                     // 000000007F30: 7E240313
	buffer_store_dwordx4 v[40:43], v18, s[88:91], 0 offen offset:512// 000000007F34: E07C1200 80162812
	buffer_store_dwordx4 v[48:51], v18, s[88:91], 0 offen offset:640// 000000007F3C: E07C1280 80163012
	v_add_u32_e32 v18, 0x2000, v18                             // 000000007F44: 682424FF 00002000
	buffer_store_dwordx4 v[44:47], v18, s[88:91], 0 offen offset:512// 000000007F4C: E07C1200 80162C12
	buffer_store_dwordx4 v[52:55], v18, s[88:91], 0 offen offset:640// 000000007F54: E07C1280 80163412
	v_add_u32_e32 v18, 0x2000, v18                             // 000000007F5C: 682424FF 00002000
	v_mov_b32_e32 v24, v136                                    // 000000007F64: 7E300388
	v_mov_b32_e32 v25, v140                                    // 000000007F68: 7E32038C
	v_mov_b32_e32 v26, v144                                    // 000000007F6C: 7E340390
	v_mov_b32_e32 v27, v148                                    // 000000007F70: 7E360394
	v_cmp_u_f32_e64 s[38:39], v24, v24                         // 000000007F74: D0480026 00023118
	v_add3_u32 v28, v24, v31, 1                                // 000000007F7C: D1FF001C 02063F18
	v_cndmask_b32_e64 v20, v28, v30, s[38:39]                  // 000000007F84: D1000014 009A3D1C
	v_cmp_u_f32_e64 s[38:39], v25, v25                         // 000000007F8C: D0480026 00023319
	v_add3_u32 v28, v25, v31, 1                                // 000000007F94: D1FF001C 02063F19
	v_cndmask_b32_e64 v21, v28, v30, s[38:39]                  // 000000007F9C: D1000015 009A3D1C
	v_perm_b32 v24, v21, v20, s52                              // 000000007FA4: D1ED0018 00D22915
	v_cmp_u_f32_e64 s[38:39], v26, v26                         // 000000007FAC: D0480026 0002351A
	v_add3_u32 v28, v26, v31, 1                                // 000000007FB4: D1FF001C 02063F1A
	v_cndmask_b32_e64 v20, v28, v30, s[38:39]                  // 000000007FBC: D1000014 009A3D1C
	v_cmp_u_f32_e64 s[38:39], v27, v27                         // 000000007FC4: D0480026 0002371B
	v_add3_u32 v28, v27, v31, 1                                // 000000007FCC: D1FF001C 02063F1B
	v_cndmask_b32_e64 v21, v28, v30, s[38:39]                  // 000000007FD4: D1000015 009A3D1C
	v_perm_b32 v25, v21, v20, s52                              // 000000007FDC: D1ED0019 00D22915
	ds_write_b64 v5, v[24:25]                                  // 000000007FE4: D89A0000 00001805
	v_mov_b32_e32 v24, v137                                    // 000000007FEC: 7E300389
	v_mov_b32_e32 v25, v141                                    // 000000007FF0: 7E32038D
	v_mov_b32_e32 v26, v145                                    // 000000007FF4: 7E340391
	v_mov_b32_e32 v27, v149                                    // 000000007FF8: 7E360395
	v_cmp_u_f32_e64 s[38:39], v24, v24                         // 000000007FFC: D0480026 00023118
	v_add3_u32 v28, v24, v31, 1                                // 000000008004: D1FF001C 02063F18
	v_cndmask_b32_e64 v20, v28, v30, s[38:39]                  // 00000000800C: D1000014 009A3D1C
	v_cmp_u_f32_e64 s[38:39], v25, v25                         // 000000008014: D0480026 00023319
	v_add3_u32 v28, v25, v31, 1                                // 00000000801C: D1FF001C 02063F19
	v_cndmask_b32_e64 v21, v28, v30, s[38:39]                  // 000000008024: D1000015 009A3D1C
	v_perm_b32 v24, v21, v20, s52                              // 00000000802C: D1ED0018 00D22915
	v_cmp_u_f32_e64 s[38:39], v26, v26                         // 000000008034: D0480026 0002351A
	v_add3_u32 v28, v26, v31, 1                                // 00000000803C: D1FF001C 02063F1A
	v_cndmask_b32_e64 v20, v28, v30, s[38:39]                  // 000000008044: D1000014 009A3D1C
	v_cmp_u_f32_e64 s[38:39], v27, v27                         // 00000000804C: D0480026 0002371B
	v_add3_u32 v28, v27, v31, 1                                // 000000008054: D1FF001C 02063F1B
	v_cndmask_b32_e64 v21, v28, v30, s[38:39]                  // 00000000805C: D1000015 009A3D1C
	v_perm_b32 v25, v21, v20, s52                              // 000000008064: D1ED0019 00D22915
	ds_write_b64 v5, v[24:25] offset:1152                      // 00000000806C: D89A0480 00001805
	v_mov_b32_e32 v24, v138                                    // 000000008074: 7E30038A
	v_mov_b32_e32 v25, v142                                    // 000000008078: 7E32038E
	v_mov_b32_e32 v26, v146                                    // 00000000807C: 7E340392
	v_mov_b32_e32 v27, v150                                    // 000000008080: 7E360396
	v_cmp_u_f32_e64 s[38:39], v24, v24                         // 000000008084: D0480026 00023118
	v_add3_u32 v28, v24, v31, 1                                // 00000000808C: D1FF001C 02063F18
	v_cndmask_b32_e64 v20, v28, v30, s[38:39]                  // 000000008094: D1000014 009A3D1C
	v_cmp_u_f32_e64 s[38:39], v25, v25                         // 00000000809C: D0480026 00023319
	v_add3_u32 v28, v25, v31, 1                                // 0000000080A4: D1FF001C 02063F19
	v_cndmask_b32_e64 v21, v28, v30, s[38:39]                  // 0000000080AC: D1000015 009A3D1C
	v_perm_b32 v24, v21, v20, s52                              // 0000000080B4: D1ED0018 00D22915
	v_cmp_u_f32_e64 s[38:39], v26, v26                         // 0000000080BC: D0480026 0002351A
	v_add3_u32 v28, v26, v31, 1                                // 0000000080C4: D1FF001C 02063F1A
	v_cndmask_b32_e64 v20, v28, v30, s[38:39]                  // 0000000080CC: D1000014 009A3D1C
	v_cmp_u_f32_e64 s[38:39], v27, v27                         // 0000000080D4: D0480026 0002371B
	v_add3_u32 v28, v27, v31, 1                                // 0000000080DC: D1FF001C 02063F1B
	v_cndmask_b32_e64 v21, v28, v30, s[38:39]                  // 0000000080E4: D1000015 009A3D1C
	v_perm_b32 v25, v21, v20, s52                              // 0000000080EC: D1ED0019 00D22915
	ds_write_b64 v5, v[24:25] offset:144                       // 0000000080F4: D89A0090 00001805
	v_mov_b32_e32 v24, v139                                    // 0000000080FC: 7E30038B
	v_mov_b32_e32 v25, v143                                    // 000000008100: 7E32038F
	v_mov_b32_e32 v26, v147                                    // 000000008104: 7E340393
	v_mov_b32_e32 v27, v151                                    // 000000008108: 7E360397
	v_cmp_u_f32_e64 s[38:39], v24, v24                         // 00000000810C: D0480026 00023118
	v_add3_u32 v28, v24, v31, 1                                // 000000008114: D1FF001C 02063F18
	v_cndmask_b32_e64 v20, v28, v30, s[38:39]                  // 00000000811C: D1000014 009A3D1C
	v_cmp_u_f32_e64 s[38:39], v25, v25                         // 000000008124: D0480026 00023319
	v_add3_u32 v28, v25, v31, 1                                // 00000000812C: D1FF001C 02063F19
	v_cndmask_b32_e64 v21, v28, v30, s[38:39]                  // 000000008134: D1000015 009A3D1C
	v_perm_b32 v24, v21, v20, s52                              // 00000000813C: D1ED0018 00D22915
	v_cmp_u_f32_e64 s[38:39], v26, v26                         // 000000008144: D0480026 0002351A
	v_add3_u32 v28, v26, v31, 1                                // 00000000814C: D1FF001C 02063F1A
	v_cndmask_b32_e64 v20, v28, v30, s[38:39]                  // 000000008154: D1000014 009A3D1C
	v_cmp_u_f32_e64 s[38:39], v27, v27                         // 00000000815C: D0480026 0002371B
	v_add3_u32 v28, v27, v31, 1                                // 000000008164: D1FF001C 02063F1B
	v_cndmask_b32_e64 v21, v28, v30, s[38:39]                  // 00000000816C: D1000015 009A3D1C
	v_perm_b32 v25, v21, v20, s52                              // 000000008174: D1ED0019 00D22915
	ds_write_b64 v5, v[24:25] offset:1296                      // 00000000817C: D89A0510 00001805
	v_mov_b32_e32 v24, v152                                    // 000000008184: 7E300398
	v_mov_b32_e32 v25, v156                                    // 000000008188: 7E32039C
	v_mov_b32_e32 v26, v160                                    // 00000000818C: 7E3403A0
	v_mov_b32_e32 v27, v164                                    // 000000008190: 7E3603A4
	v_cmp_u_f32_e64 s[38:39], v24, v24                         // 000000008194: D0480026 00023118
	v_add3_u32 v28, v24, v31, 1                                // 00000000819C: D1FF001C 02063F18
	v_cndmask_b32_e64 v20, v28, v30, s[38:39]                  // 0000000081A4: D1000014 009A3D1C
	v_cmp_u_f32_e64 s[38:39], v25, v25                         // 0000000081AC: D0480026 00023319
	v_add3_u32 v28, v25, v31, 1                                // 0000000081B4: D1FF001C 02063F19
	v_cndmask_b32_e64 v21, v28, v30, s[38:39]                  // 0000000081BC: D1000015 009A3D1C
	v_perm_b32 v24, v21, v20, s52                              // 0000000081C4: D1ED0018 00D22915
	v_cmp_u_f32_e64 s[38:39], v26, v26                         // 0000000081CC: D0480026 0002351A
	v_add3_u32 v28, v26, v31, 1                                // 0000000081D4: D1FF001C 02063F1A
	v_cndmask_b32_e64 v20, v28, v30, s[38:39]                  // 0000000081DC: D1000014 009A3D1C
	v_cmp_u_f32_e64 s[38:39], v27, v27                         // 0000000081E4: D0480026 0002371B
	v_add3_u32 v28, v27, v31, 1                                // 0000000081EC: D1FF001C 02063F1B
	v_cndmask_b32_e64 v21, v28, v30, s[38:39]                  // 0000000081F4: D1000015 009A3D1C
	v_perm_b32 v25, v21, v20, s52                              // 0000000081FC: D1ED0019 00D22915
	ds_write_b64 v5, v[24:25] offset:2304                      // 000000008204: D89A0900 00001805
	v_mov_b32_e32 v24, v153                                    // 00000000820C: 7E300399
	v_mov_b32_e32 v25, v157                                    // 000000008210: 7E32039D
	v_mov_b32_e32 v26, v161                                    // 000000008214: 7E3403A1
	v_mov_b32_e32 v27, v165                                    // 000000008218: 7E3603A5
	v_cmp_u_f32_e64 s[38:39], v24, v24                         // 00000000821C: D0480026 00023118
	v_add3_u32 v28, v24, v31, 1                                // 000000008224: D1FF001C 02063F18
	v_cndmask_b32_e64 v20, v28, v30, s[38:39]                  // 00000000822C: D1000014 009A3D1C
	v_cmp_u_f32_e64 s[38:39], v25, v25                         // 000000008234: D0480026 00023319
	v_add3_u32 v28, v25, v31, 1                                // 00000000823C: D1FF001C 02063F19
	v_cndmask_b32_e64 v21, v28, v30, s[38:39]                  // 000000008244: D1000015 009A3D1C
	v_perm_b32 v24, v21, v20, s52                              // 00000000824C: D1ED0018 00D22915
	v_cmp_u_f32_e64 s[38:39], v26, v26                         // 000000008254: D0480026 0002351A
	v_add3_u32 v28, v26, v31, 1                                // 00000000825C: D1FF001C 02063F1A
	v_cndmask_b32_e64 v20, v28, v30, s[38:39]                  // 000000008264: D1000014 009A3D1C
	v_cmp_u_f32_e64 s[38:39], v27, v27                         // 00000000826C: D0480026 0002371B
	v_add3_u32 v28, v27, v31, 1                                // 000000008274: D1FF001C 02063F1B
	v_cndmask_b32_e64 v21, v28, v30, s[38:39]                  // 00000000827C: D1000015 009A3D1C
	v_perm_b32 v25, v21, v20, s52                              // 000000008284: D1ED0019 00D22915
	ds_write_b64 v5, v[24:25] offset:3456                      // 00000000828C: D89A0D80 00001805
	v_mov_b32_e32 v24, v154                                    // 000000008294: 7E30039A
	v_mov_b32_e32 v25, v158                                    // 000000008298: 7E32039E
	v_mov_b32_e32 v26, v162                                    // 00000000829C: 7E3403A2
	v_mov_b32_e32 v27, v166                                    // 0000000082A0: 7E3603A6
	v_cmp_u_f32_e64 s[38:39], v24, v24                         // 0000000082A4: D0480026 00023118
	v_add3_u32 v28, v24, v31, 1                                // 0000000082AC: D1FF001C 02063F18
	v_cndmask_b32_e64 v20, v28, v30, s[38:39]                  // 0000000082B4: D1000014 009A3D1C
	v_cmp_u_f32_e64 s[38:39], v25, v25                         // 0000000082BC: D0480026 00023319
	v_add3_u32 v28, v25, v31, 1                                // 0000000082C4: D1FF001C 02063F19
	v_cndmask_b32_e64 v21, v28, v30, s[38:39]                  // 0000000082CC: D1000015 009A3D1C
	v_perm_b32 v24, v21, v20, s52                              // 0000000082D4: D1ED0018 00D22915
	v_cmp_u_f32_e64 s[38:39], v26, v26                         // 0000000082DC: D0480026 0002351A
	v_add3_u32 v28, v26, v31, 1                                // 0000000082E4: D1FF001C 02063F1A
	v_cndmask_b32_e64 v20, v28, v30, s[38:39]                  // 0000000082EC: D1000014 009A3D1C
	v_cmp_u_f32_e64 s[38:39], v27, v27                         // 0000000082F4: D0480026 0002371B
	v_add3_u32 v28, v27, v31, 1                                // 0000000082FC: D1FF001C 02063F1B
	v_cndmask_b32_e64 v21, v28, v30, s[38:39]                  // 000000008304: D1000015 009A3D1C
	v_perm_b32 v25, v21, v20, s52                              // 00000000830C: D1ED0019 00D22915
	ds_write_b64 v5, v[24:25] offset:2448                      // 000000008314: D89A0990 00001805
	v_mov_b32_e32 v24, v155                                    // 00000000831C: 7E30039B
	v_mov_b32_e32 v25, v159                                    // 000000008320: 7E32039F
	v_mov_b32_e32 v26, v163                                    // 000000008324: 7E3403A3
	v_mov_b32_e32 v27, v167                                    // 000000008328: 7E3603A7
	v_cmp_u_f32_e64 s[38:39], v24, v24                         // 00000000832C: D0480026 00023118
	v_add3_u32 v28, v24, v31, 1                                // 000000008334: D1FF001C 02063F18
	v_cndmask_b32_e64 v20, v28, v30, s[38:39]                  // 00000000833C: D1000014 009A3D1C
	v_cmp_u_f32_e64 s[38:39], v25, v25                         // 000000008344: D0480026 00023319
	v_add3_u32 v28, v25, v31, 1                                // 00000000834C: D1FF001C 02063F19
	v_cndmask_b32_e64 v21, v28, v30, s[38:39]                  // 000000008354: D1000015 009A3D1C
	v_perm_b32 v24, v21, v20, s52                              // 00000000835C: D1ED0018 00D22915
	v_cmp_u_f32_e64 s[38:39], v26, v26                         // 000000008364: D0480026 0002351A
	v_add3_u32 v28, v26, v31, 1                                // 00000000836C: D1FF001C 02063F1A
	v_cndmask_b32_e64 v20, v28, v30, s[38:39]                  // 000000008374: D1000014 009A3D1C
	v_cmp_u_f32_e64 s[38:39], v27, v27                         // 00000000837C: D0480026 0002371B
	v_add3_u32 v28, v27, v31, 1                                // 000000008384: D1FF001C 02063F1B
	v_cndmask_b32_e64 v21, v28, v30, s[38:39]                  // 00000000838C: D1000015 009A3D1C
	v_perm_b32 v25, v21, v20, s52                              // 000000008394: D1ED0019 00D22915
	ds_write_b64 v5, v[24:25] offset:3600                      // 00000000839C: D89A0E10 00001805
	s_waitcnt lgkmcnt(4)                                       // 0000000083A4: BF8CC47F
	ds_read_b64 v[40:41], v4                                   // 0000000083A8: D8EC0000 28000004
	ds_read_b64 v[44:45], v4 offset:64                         // 0000000083B0: D8EC0040 2C000004
	ds_read_b64 v[42:43], v4 offset:1152                       // 0000000083B8: D8EC0480 2A000004
	ds_read_b64 v[46:47], v4 offset:1216                       // 0000000083C0: D8EC04C0 2E000004
	s_waitcnt lgkmcnt(4)                                       // 0000000083C8: BF8CC47F
	ds_read_b64 v[48:49], v4 offset:2304                       // 0000000083CC: D8EC0900 30000004
	ds_read_b64 v[52:53], v4 offset:2368                       // 0000000083D4: D8EC0940 34000004
	ds_read_b64 v[50:51], v4 offset:3456                       // 0000000083DC: D8EC0D80 32000004
	ds_read_b64 v[54:55], v4 offset:3520                       // 0000000083E4: D8EC0DC0 36000004
	s_waitcnt lgkmcnt(0)                                       // 0000000083EC: BF8CC07F
	v_mov_b32_e32 v18, v19                                     // 0000000083F0: 7E240313
	buffer_store_dwordx4 v[40:43], v18, s[88:91], 0 offen offset:768// 0000000083F4: E07C1300 80162812
	buffer_store_dwordx4 v[48:51], v18, s[88:91], 0 offen offset:896// 0000000083FC: E07C1380 80163012
	v_add_u32_e32 v18, 0x2000, v18                             // 000000008404: 682424FF 00002000
	buffer_store_dwordx4 v[44:47], v18, s[88:91], 0 offen offset:768// 00000000840C: E07C1300 80162C12
	buffer_store_dwordx4 v[52:55], v18, s[88:91], 0 offen offset:896// 000000008414: E07C1380 80163412
	v_add_u32_e32 v18, 0x2000, v18                             // 00000000841C: 682424FF 00002000
	s_branch label_65E0                                        // 000000008424: BF8201AE

0000000000008428 <label_5F28>:
	s_mov_b32 s75, 0x8000                                      // 000000008428: BECB00FF 00008000
	s_mul_i32 s76, s87, s75                                    // 000000008430: 924C4B57
	s_mov_b32 s56, s76                                         // 000000008434: BEB8004C
	s_add_u32 s8, s56, s8                                      // 000000008438: 80080838
	s_addc_u32 s9, 0, s9                                       // 00000000843C: 82090980
	s_sub_u32 s56, s81, s80                                    // 000000008440: 80B85051
	s_mul_i32 s56, s56, s75                                    // 000000008444: 92384B38
	s_mov_b32 s10, s56                                         // 000000008448: BE8A0038
	v_and_b32_e32 v20, 15, v0                                  // 00000000844C: 2628008F
	v_lshlrev_b32_e32 v18, 4, v20                              // 000000008450: 24242884
	v_lshrrev_b32_e32 v20, 4, v0                               // 000000008454: 20280084
	v_mul_i32_i24_e32 v20, 0x800, v20                          // 000000008458: 0C2828FF 00000800
	v_add_u32_e32 v18, v18, v20                                // 000000008460: 68242912
	s_mul_i32 s56, s7, s75                                     // 000000008464: 92384B07
	v_add_u32_e64 v18, v18, s56                                // 000000008468: D1340012 00007112
	v_mov_b32_e32 v19, v18                                     // 000000008470: 7E260312
	s_mov_b32 s58, 64                                          // 000000008474: BEBA00C0
	s_mul_i32 s56, s58, s87                                    // 000000008478: 9238573A
	s_add_u32 s12, s56, s12                                    // 00000000847C: 800C0C38
	s_addc_u32 s13, 0, s13                                     // 000000008480: 820D0D80
	s_sub_u32 s56, s81, s80                                    // 000000008484: 80B85051
	s_mul_i32 s56, s56, s58                                    // 000000008488: 92383A38
	s_mov_b32 s14, s56                                         // 00000000848C: BE8E0038
	v_and_b32_e32 v26, 15, v0                                  // 000000008490: 2634008F
	v_lshlrev_b32_e32 v26, 2, v26                              // 000000008494: 24343482
	s_mul_i32 s56, s7, s57                                     // 000000008498: 92383907
	s_mul_i32 s57, s58, s7                                     // 00000000849C: 9239073A
	v_add_u32_e64 v26, v26, s57                                // 0000000084A0: D134001A 0000731A
	s_waitcnt vmcnt(0) lgkmcnt(0)                              // 0000000084A8: BF8C0070
	s_barrier                                                  // 0000000084AC: BF8A0000
	v_lshlrev_b32_e32 v5, 2, v0                                // 0000000084B0: 240A0082
	s_mul_i32 s56, s7, 0x840                                   // 0000000084B4: 9238FF07 00000840
	v_add_u32_e32 v5, s56, v5                                  // 0000000084BC: 680A0A38
	v_lshlrev_b32_e32 v5, 2, v5                                // 0000000084C0: 240A0A82
	v_lshrrev_b32_e32 v20, 4, v0                               // 0000000084C4: 20280084
	v_mul_i32_i24_e32 v4, 4, v20                               // 0000000084C8: 0C082884
	v_and_b32_e32 v20, 3, v0                                   // 0000000084CC: 26280083
	v_mul_i32_i24_e32 v20, 0x108, v20                          // 0000000084D0: 0C2828FF 00000108
	v_add_u32_e32 v4, v20, v4                                  // 0000000084D8: 68080914
	v_and_b32_e32 v20, 15, v0                                  // 0000000084DC: 2628008F
	v_lshrrev_b32_e32 v20, 2, v20                              // 0000000084E0: 20282882
	v_mul_i32_i24_e32 v20, 64, v20                             // 0000000084E4: 0C2828C0
	v_add_u32_e32 v4, v20, v4                                  // 0000000084E8: 68080914
	s_mul_i32 s56, s7, 0x840                                   // 0000000084EC: 9238FF07 00000840
	v_add_u32_e32 v4, s56, v4                                  // 0000000084F4: 68080838
	v_lshlrev_b32_e32 v4, 2, v4                                // 0000000084F8: 24080882
	s_mul_i32 s56, 0, s76                                      // 0000000084FC: 92384C80
	v_add_u32_e64 v19, v19, s56                                // 000000008500: D1340013 00007113
	v_mov_b32_e32 v20, v40                                     // 000000008508: 7E280328
	v_mov_b32_e32 v21, v44                                     // 00000000850C: 7E2A032C
	v_mov_b32_e32 v22, v48                                     // 000000008510: 7E2C0330
	v_mov_b32_e32 v23, v52                                     // 000000008514: 7E2E0334
	ds_write_b128 v5, v[20:23]                                 // 000000008518: D9BE0000 00001405
	v_mov_b32_e32 v20, v41                                     // 000000008520: 7E280329
	v_mov_b32_e32 v21, v45                                     // 000000008524: 7E2A032D
	v_mov_b32_e32 v22, v49                                     // 000000008528: 7E2C0331
	v_mov_b32_e32 v23, v53                                     // 00000000852C: 7E2E0335
	ds_write_b128 v5, v[20:23] offset:1056                     // 000000008530: D9BE0420 00001405
	v_mov_b32_e32 v20, v42                                     // 000000008538: 7E28032A
	v_mov_b32_e32 v21, v46                                     // 00000000853C: 7E2A032E
	v_mov_b32_e32 v22, v50                                     // 000000008540: 7E2C0332
	v_mov_b32_e32 v23, v54                                     // 000000008544: 7E2E0336
	ds_write_b128 v5, v[20:23] offset:2112                     // 000000008548: D9BE0840 00001405
	v_mov_b32_e32 v20, v43                                     // 000000008550: 7E28032B
	v_mov_b32_e32 v21, v47                                     // 000000008554: 7E2A032F
	v_mov_b32_e32 v22, v51                                     // 000000008558: 7E2C0333
	v_mov_b32_e32 v23, v55                                     // 00000000855C: 7E2E0337
	ds_write_b128 v5, v[20:23] offset:3168                     // 000000008560: D9BE0C60 00001405
	v_mov_b32_e32 v20, v56                                     // 000000008568: 7E280338
	v_mov_b32_e32 v21, v60                                     // 00000000856C: 7E2A033C
	v_mov_b32_e32 v22, v64                                     // 000000008570: 7E2C0340
	v_mov_b32_e32 v23, v68                                     // 000000008574: 7E2E0344
	ds_write_b128 v5, v[20:23] offset:4224                     // 000000008578: D9BE1080 00001405
	v_mov_b32_e32 v20, v57                                     // 000000008580: 7E280339
	v_mov_b32_e32 v21, v61                                     // 000000008584: 7E2A033D
	v_mov_b32_e32 v22, v65                                     // 000000008588: 7E2C0341
	v_mov_b32_e32 v23, v69                                     // 00000000858C: 7E2E0345
	ds_write_b128 v5, v[20:23] offset:5280                     // 000000008590: D9BE14A0 00001405
	v_mov_b32_e32 v20, v58                                     // 000000008598: 7E28033A
	v_mov_b32_e32 v21, v62                                     // 00000000859C: 7E2A033E
	v_mov_b32_e32 v22, v66                                     // 0000000085A0: 7E2C0342
	v_mov_b32_e32 v23, v70                                     // 0000000085A4: 7E2E0346
	ds_write_b128 v5, v[20:23] offset:6336                     // 0000000085A8: D9BE18C0 00001405
	v_mov_b32_e32 v20, v59                                     // 0000000085B0: 7E28033B
	v_mov_b32_e32 v21, v63                                     // 0000000085B4: 7E2A033F
	v_mov_b32_e32 v22, v67                                     // 0000000085B8: 7E2C0343
	v_mov_b32_e32 v23, v71                                     // 0000000085BC: 7E2E0347
	ds_write_b128 v5, v[20:23] offset:7392                     // 0000000085C0: D9BE1CE0 00001405
	s_waitcnt lgkmcnt(4)                                       // 0000000085C8: BF8CC47F
	ds_read_b128 v[40:43], v4                                  // 0000000085CC: D9FE0000 28000004
	ds_read_b128 v[44:47], v4 offset:64                        // 0000000085D4: D9FE0040 2C000004
	ds_read_b128 v[48:51], v4 offset:128                       // 0000000085DC: D9FE0080 30000004
	ds_read_b128 v[52:55], v4 offset:192                       // 0000000085E4: D9FE00C0 34000004
	s_waitcnt lgkmcnt(4)                                       // 0000000085EC: BF8CC47F
	ds_read_b128 v[56:59], v4 offset:4224                      // 0000000085F0: D9FE1080 38000004
	ds_read_b128 v[60:63], v4 offset:4288                      // 0000000085F8: D9FE10C0 3C000004
	ds_read_b128 v[64:67], v4 offset:4352                      // 000000008600: D9FE1100 40000004
	ds_read_b128 v[68:71], v4 offset:4416                      // 000000008608: D9FE1140 44000004
	s_waitcnt lgkmcnt(0)                                       // 000000008610: BF8CC07F
	v_mov_b32_e32 v18, v19                                     // 000000008614: 7E240313
	buffer_store_dwordx4 v[40:43], v18, s[8:11], 0 offen       // 000000008618: E07C1000 80022812
	buffer_store_dwordx4 v[56:59], v18, s[8:11], 0 offen offset:256// 000000008620: E07C1100 80023812
	v_add_u32_e32 v18, 0x2000, v18                             // 000000008628: 682424FF 00002000
	buffer_store_dwordx4 v[44:47], v18, s[8:11], 0 offen       // 000000008630: E07C1000 80022C12
	buffer_store_dwordx4 v[60:63], v18, s[8:11], 0 offen offset:256// 000000008638: E07C1100 80023C12
	v_add_u32_e32 v18, 0x2000, v18                             // 000000008640: 682424FF 00002000
	buffer_store_dwordx4 v[48:51], v18, s[8:11], 0 offen       // 000000008648: E07C1000 80023012
	buffer_store_dwordx4 v[64:67], v18, s[8:11], 0 offen offset:256// 000000008650: E07C1100 80024012
	v_add_u32_e32 v18, 0x2000, v18                             // 000000008658: 682424FF 00002000
	buffer_store_dwordx4 v[52:55], v18, s[8:11], 0 offen       // 000000008660: E07C1000 80023412
	buffer_store_dwordx4 v[68:71], v18, s[8:11], 0 offen offset:256// 000000008668: E07C1100 80024412
	v_add_u32_e32 v18, 0x2000, v18                             // 000000008670: 682424FF 00002000
	v_mov_b32_e32 v20, v72                                     // 000000008678: 7E280348
	v_mov_b32_e32 v21, v76                                     // 00000000867C: 7E2A034C
	v_mov_b32_e32 v22, v80                                     // 000000008680: 7E2C0350
	v_mov_b32_e32 v23, v84                                     // 000000008684: 7E2E0354
	ds_write_b128 v5, v[20:23]                                 // 000000008688: D9BE0000 00001405
	v_mov_b32_e32 v20, v73                                     // 000000008690: 7E280349
	v_mov_b32_e32 v21, v77                                     // 000000008694: 7E2A034D
	v_mov_b32_e32 v22, v81                                     // 000000008698: 7E2C0351
	v_mov_b32_e32 v23, v85                                     // 00000000869C: 7E2E0355
	ds_write_b128 v5, v[20:23] offset:1056                     // 0000000086A0: D9BE0420 00001405
	v_mov_b32_e32 v20, v74                                     // 0000000086A8: 7E28034A
	v_mov_b32_e32 v21, v78                                     // 0000000086AC: 7E2A034E
	v_mov_b32_e32 v22, v82                                     // 0000000086B0: 7E2C0352
	v_mov_b32_e32 v23, v86                                     // 0000000086B4: 7E2E0356
	ds_write_b128 v5, v[20:23] offset:2112                     // 0000000086B8: D9BE0840 00001405
	v_mov_b32_e32 v20, v75                                     // 0000000086C0: 7E28034B
	v_mov_b32_e32 v21, v79                                     // 0000000086C4: 7E2A034F
	v_mov_b32_e32 v22, v83                                     // 0000000086C8: 7E2C0353
	v_mov_b32_e32 v23, v87                                     // 0000000086CC: 7E2E0357
	ds_write_b128 v5, v[20:23] offset:3168                     // 0000000086D0: D9BE0C60 00001405
	v_mov_b32_e32 v20, v88                                     // 0000000086D8: 7E280358
	v_mov_b32_e32 v21, v92                                     // 0000000086DC: 7E2A035C
	v_mov_b32_e32 v22, v96                                     // 0000000086E0: 7E2C0360
	v_mov_b32_e32 v23, v100                                    // 0000000086E4: 7E2E0364
	ds_write_b128 v5, v[20:23] offset:4224                     // 0000000086E8: D9BE1080 00001405
	v_mov_b32_e32 v20, v89                                     // 0000000086F0: 7E280359
	v_mov_b32_e32 v21, v93                                     // 0000000086F4: 7E2A035D
	v_mov_b32_e32 v22, v97                                     // 0000000086F8: 7E2C0361
	v_mov_b32_e32 v23, v101                                    // 0000000086FC: 7E2E0365
	ds_write_b128 v5, v[20:23] offset:5280                     // 000000008700: D9BE14A0 00001405
	v_mov_b32_e32 v20, v90                                     // 000000008708: 7E28035A
	v_mov_b32_e32 v21, v94                                     // 00000000870C: 7E2A035E
	v_mov_b32_e32 v22, v98                                     // 000000008710: 7E2C0362
	v_mov_b32_e32 v23, v102                                    // 000000008714: 7E2E0366
	ds_write_b128 v5, v[20:23] offset:6336                     // 000000008718: D9BE18C0 00001405
	v_mov_b32_e32 v20, v91                                     // 000000008720: 7E28035B
	v_mov_b32_e32 v21, v95                                     // 000000008724: 7E2A035F
	v_mov_b32_e32 v22, v99                                     // 000000008728: 7E2C0363
	v_mov_b32_e32 v23, v103                                    // 00000000872C: 7E2E0367
	ds_write_b128 v5, v[20:23] offset:7392                     // 000000008730: D9BE1CE0 00001405
	s_waitcnt lgkmcnt(4)                                       // 000000008738: BF8CC47F
	ds_read_b128 v[40:43], v4                                  // 00000000873C: D9FE0000 28000004
	ds_read_b128 v[44:47], v4 offset:64                        // 000000008744: D9FE0040 2C000004
	ds_read_b128 v[48:51], v4 offset:128                       // 00000000874C: D9FE0080 30000004
	ds_read_b128 v[52:55], v4 offset:192                       // 000000008754: D9FE00C0 34000004
	s_waitcnt lgkmcnt(4)                                       // 00000000875C: BF8CC47F
	ds_read_b128 v[56:59], v4 offset:4224                      // 000000008760: D9FE1080 38000004
	ds_read_b128 v[60:63], v4 offset:4288                      // 000000008768: D9FE10C0 3C000004
	ds_read_b128 v[64:67], v4 offset:4352                      // 000000008770: D9FE1100 40000004
	ds_read_b128 v[68:71], v4 offset:4416                      // 000000008778: D9FE1140 44000004
	s_waitcnt lgkmcnt(0)                                       // 000000008780: BF8CC07F
	v_mov_b32_e32 v18, v19                                     // 000000008784: 7E240313
	buffer_store_dwordx4 v[40:43], v18, s[8:11], 0 offen offset:512// 000000008788: E07C1200 80022812
	buffer_store_dwordx4 v[56:59], v18, s[8:11], 0 offen offset:768// 000000008790: E07C1300 80023812
	v_add_u32_e32 v18, 0x2000, v18                             // 000000008798: 682424FF 00002000
	buffer_store_dwordx4 v[44:47], v18, s[8:11], 0 offen offset:512// 0000000087A0: E07C1200 80022C12
	buffer_store_dwordx4 v[60:63], v18, s[8:11], 0 offen offset:768// 0000000087A8: E07C1300 80023C12
	v_add_u32_e32 v18, 0x2000, v18                             // 0000000087B0: 682424FF 00002000
	buffer_store_dwordx4 v[48:51], v18, s[8:11], 0 offen offset:512// 0000000087B8: E07C1200 80023012
	buffer_store_dwordx4 v[64:67], v18, s[8:11], 0 offen offset:768// 0000000087C0: E07C1300 80024012
	v_add_u32_e32 v18, 0x2000, v18                             // 0000000087C8: 682424FF 00002000
	buffer_store_dwordx4 v[52:55], v18, s[8:11], 0 offen offset:512// 0000000087D0: E07C1200 80023412
	buffer_store_dwordx4 v[68:71], v18, s[8:11], 0 offen offset:768// 0000000087D8: E07C1300 80024412
	v_add_u32_e32 v18, 0x2000, v18                             // 0000000087E0: 682424FF 00002000
	v_mov_b32_e32 v20, v104                                    // 0000000087E8: 7E280368
	v_mov_b32_e32 v21, v108                                    // 0000000087EC: 7E2A036C
	v_mov_b32_e32 v22, v112                                    // 0000000087F0: 7E2C0370
	v_mov_b32_e32 v23, v116                                    // 0000000087F4: 7E2E0374
	ds_write_b128 v5, v[20:23]                                 // 0000000087F8: D9BE0000 00001405
	v_mov_b32_e32 v20, v105                                    // 000000008800: 7E280369
	v_mov_b32_e32 v21, v109                                    // 000000008804: 7E2A036D
	v_mov_b32_e32 v22, v113                                    // 000000008808: 7E2C0371
	v_mov_b32_e32 v23, v117                                    // 00000000880C: 7E2E0375
	ds_write_b128 v5, v[20:23] offset:1056                     // 000000008810: D9BE0420 00001405
	v_mov_b32_e32 v20, v106                                    // 000000008818: 7E28036A
	v_mov_b32_e32 v21, v110                                    // 00000000881C: 7E2A036E
	v_mov_b32_e32 v22, v114                                    // 000000008820: 7E2C0372
	v_mov_b32_e32 v23, v118                                    // 000000008824: 7E2E0376
	ds_write_b128 v5, v[20:23] offset:2112                     // 000000008828: D9BE0840 00001405
	v_mov_b32_e32 v20, v107                                    // 000000008830: 7E28036B
	v_mov_b32_e32 v21, v111                                    // 000000008834: 7E2A036F
	v_mov_b32_e32 v22, v115                                    // 000000008838: 7E2C0373
	v_mov_b32_e32 v23, v119                                    // 00000000883C: 7E2E0377
	ds_write_b128 v5, v[20:23] offset:3168                     // 000000008840: D9BE0C60 00001405
	v_mov_b32_e32 v20, v120                                    // 000000008848: 7E280378
	v_mov_b32_e32 v21, v124                                    // 00000000884C: 7E2A037C
	v_mov_b32_e32 v22, v128                                    // 000000008850: 7E2C0380
	v_mov_b32_e32 v23, v132                                    // 000000008854: 7E2E0384
	ds_write_b128 v5, v[20:23] offset:4224                     // 000000008858: D9BE1080 00001405
	v_mov_b32_e32 v20, v121                                    // 000000008860: 7E280379
	v_mov_b32_e32 v21, v125                                    // 000000008864: 7E2A037D
	v_mov_b32_e32 v22, v129                                    // 000000008868: 7E2C0381
	v_mov_b32_e32 v23, v133                                    // 00000000886C: 7E2E0385
	ds_write_b128 v5, v[20:23] offset:5280                     // 000000008870: D9BE14A0 00001405
	v_mov_b32_e32 v20, v122                                    // 000000008878: 7E28037A
	v_mov_b32_e32 v21, v126                                    // 00000000887C: 7E2A037E
	v_mov_b32_e32 v22, v130                                    // 000000008880: 7E2C0382
	v_mov_b32_e32 v23, v134                                    // 000000008884: 7E2E0386
	ds_write_b128 v5, v[20:23] offset:6336                     // 000000008888: D9BE18C0 00001405
	v_mov_b32_e32 v20, v123                                    // 000000008890: 7E28037B
	v_mov_b32_e32 v21, v127                                    // 000000008894: 7E2A037F
	v_mov_b32_e32 v22, v131                                    // 000000008898: 7E2C0383
	v_mov_b32_e32 v23, v135                                    // 00000000889C: 7E2E0387
	ds_write_b128 v5, v[20:23] offset:7392                     // 0000000088A0: D9BE1CE0 00001405
	s_waitcnt lgkmcnt(4)                                       // 0000000088A8: BF8CC47F
	ds_read_b128 v[40:43], v4                                  // 0000000088AC: D9FE0000 28000004
	ds_read_b128 v[44:47], v4 offset:64                        // 0000000088B4: D9FE0040 2C000004
	ds_read_b128 v[48:51], v4 offset:128                       // 0000000088BC: D9FE0080 30000004
	ds_read_b128 v[52:55], v4 offset:192                       // 0000000088C4: D9FE00C0 34000004
	s_waitcnt lgkmcnt(4)                                       // 0000000088CC: BF8CC47F
	ds_read_b128 v[56:59], v4 offset:4224                      // 0000000088D0: D9FE1080 38000004
	ds_read_b128 v[60:63], v4 offset:4288                      // 0000000088D8: D9FE10C0 3C000004
	ds_read_b128 v[64:67], v4 offset:4352                      // 0000000088E0: D9FE1100 40000004
	ds_read_b128 v[68:71], v4 offset:4416                      // 0000000088E8: D9FE1140 44000004
	s_waitcnt lgkmcnt(0)                                       // 0000000088F0: BF8CC07F
	v_mov_b32_e32 v18, v19                                     // 0000000088F4: 7E240313
	buffer_store_dwordx4 v[40:43], v18, s[8:11], 0 offen offset:1024// 0000000088F8: E07C1400 80022812
	buffer_store_dwordx4 v[56:59], v18, s[8:11], 0 offen offset:1280// 000000008900: E07C1500 80023812
	v_add_u32_e32 v18, 0x2000, v18                             // 000000008908: 682424FF 00002000
	buffer_store_dwordx4 v[44:47], v18, s[8:11], 0 offen offset:1024// 000000008910: E07C1400 80022C12
	buffer_store_dwordx4 v[60:63], v18, s[8:11], 0 offen offset:1280// 000000008918: E07C1500 80023C12
	v_add_u32_e32 v18, 0x2000, v18                             // 000000008920: 682424FF 00002000
	buffer_store_dwordx4 v[48:51], v18, s[8:11], 0 offen offset:1024// 000000008928: E07C1400 80023012
	buffer_store_dwordx4 v[64:67], v18, s[8:11], 0 offen offset:1280// 000000008930: E07C1500 80024012
	v_add_u32_e32 v18, 0x2000, v18                             // 000000008938: 682424FF 00002000
	buffer_store_dwordx4 v[52:55], v18, s[8:11], 0 offen offset:1024// 000000008940: E07C1400 80023412
	buffer_store_dwordx4 v[68:71], v18, s[8:11], 0 offen offset:1280// 000000008948: E07C1500 80024412
	v_add_u32_e32 v18, 0x2000, v18                             // 000000008950: 682424FF 00002000
	v_mov_b32_e32 v20, v136                                    // 000000008958: 7E280388
	v_mov_b32_e32 v21, v140                                    // 00000000895C: 7E2A038C
	v_mov_b32_e32 v22, v144                                    // 000000008960: 7E2C0390
	v_mov_b32_e32 v23, v148                                    // 000000008964: 7E2E0394
	ds_write_b128 v5, v[20:23]                                 // 000000008968: D9BE0000 00001405
	v_mov_b32_e32 v20, v137                                    // 000000008970: 7E280389
	v_mov_b32_e32 v21, v141                                    // 000000008974: 7E2A038D
	v_mov_b32_e32 v22, v145                                    // 000000008978: 7E2C0391
	v_mov_b32_e32 v23, v149                                    // 00000000897C: 7E2E0395
	ds_write_b128 v5, v[20:23] offset:1056                     // 000000008980: D9BE0420 00001405
	v_mov_b32_e32 v20, v138                                    // 000000008988: 7E28038A
	v_mov_b32_e32 v21, v142                                    // 00000000898C: 7E2A038E
	v_mov_b32_e32 v22, v146                                    // 000000008990: 7E2C0392
	v_mov_b32_e32 v23, v150                                    // 000000008994: 7E2E0396
	ds_write_b128 v5, v[20:23] offset:2112                     // 000000008998: D9BE0840 00001405
	v_mov_b32_e32 v20, v139                                    // 0000000089A0: 7E28038B
	v_mov_b32_e32 v21, v143                                    // 0000000089A4: 7E2A038F
	v_mov_b32_e32 v22, v147                                    // 0000000089A8: 7E2C0393
	v_mov_b32_e32 v23, v151                                    // 0000000089AC: 7E2E0397
	ds_write_b128 v5, v[20:23] offset:3168                     // 0000000089B0: D9BE0C60 00001405
	v_mov_b32_e32 v20, v152                                    // 0000000089B8: 7E280398
	v_mov_b32_e32 v21, v156                                    // 0000000089BC: 7E2A039C
	v_mov_b32_e32 v22, v160                                    // 0000000089C0: 7E2C03A0
	v_mov_b32_e32 v23, v164                                    // 0000000089C4: 7E2E03A4
	ds_write_b128 v5, v[20:23] offset:4224                     // 0000000089C8: D9BE1080 00001405
	v_mov_b32_e32 v20, v153                                    // 0000000089D0: 7E280399
	v_mov_b32_e32 v21, v157                                    // 0000000089D4: 7E2A039D
	v_mov_b32_e32 v22, v161                                    // 0000000089D8: 7E2C03A1
	v_mov_b32_e32 v23, v165                                    // 0000000089DC: 7E2E03A5
	ds_write_b128 v5, v[20:23] offset:5280                     // 0000000089E0: D9BE14A0 00001405
	v_mov_b32_e32 v20, v154                                    // 0000000089E8: 7E28039A
	v_mov_b32_e32 v21, v158                                    // 0000000089EC: 7E2A039E
	v_mov_b32_e32 v22, v162                                    // 0000000089F0: 7E2C03A2
	v_mov_b32_e32 v23, v166                                    // 0000000089F4: 7E2E03A6
	ds_write_b128 v5, v[20:23] offset:6336                     // 0000000089F8: D9BE18C0 00001405
	v_mov_b32_e32 v20, v155                                    // 000000008A00: 7E28039B
	v_mov_b32_e32 v21, v159                                    // 000000008A04: 7E2A039F
	v_mov_b32_e32 v22, v163                                    // 000000008A08: 7E2C03A3
	v_mov_b32_e32 v23, v167                                    // 000000008A0C: 7E2E03A7
	ds_write_b128 v5, v[20:23] offset:7392                     // 000000008A10: D9BE1CE0 00001405
	s_waitcnt lgkmcnt(4)                                       // 000000008A18: BF8CC47F
	ds_read_b128 v[40:43], v4                                  // 000000008A1C: D9FE0000 28000004
	ds_read_b128 v[44:47], v4 offset:64                        // 000000008A24: D9FE0040 2C000004
	ds_read_b128 v[48:51], v4 offset:128                       // 000000008A2C: D9FE0080 30000004
	ds_read_b128 v[52:55], v4 offset:192                       // 000000008A34: D9FE00C0 34000004
	s_waitcnt lgkmcnt(4)                                       // 000000008A3C: BF8CC47F
	ds_read_b128 v[56:59], v4 offset:4224                      // 000000008A40: D9FE1080 38000004
	ds_read_b128 v[60:63], v4 offset:4288                      // 000000008A48: D9FE10C0 3C000004
	ds_read_b128 v[64:67], v4 offset:4352                      // 000000008A50: D9FE1100 40000004
	ds_read_b128 v[68:71], v4 offset:4416                      // 000000008A58: D9FE1140 44000004
	s_waitcnt lgkmcnt(0)                                       // 000000008A60: BF8CC07F
	v_mov_b32_e32 v18, v19                                     // 000000008A64: 7E240313
	buffer_store_dwordx4 v[40:43], v18, s[8:11], 0 offen offset:1536// 000000008A68: E07C1600 80022812
	buffer_store_dwordx4 v[56:59], v18, s[8:11], 0 offen offset:1792// 000000008A70: E07C1700 80023812
	v_add_u32_e32 v18, 0x2000, v18                             // 000000008A78: 682424FF 00002000
	buffer_store_dwordx4 v[44:47], v18, s[8:11], 0 offen offset:1536// 000000008A80: E07C1600 80022C12
	buffer_store_dwordx4 v[60:63], v18, s[8:11], 0 offen offset:1792// 000000008A88: E07C1700 80023C12
	v_add_u32_e32 v18, 0x2000, v18                             // 000000008A90: 682424FF 00002000
	buffer_store_dwordx4 v[48:51], v18, s[8:11], 0 offen offset:1536// 000000008A98: E07C1600 80023012
	buffer_store_dwordx4 v[64:67], v18, s[8:11], 0 offen offset:1792// 000000008AA0: E07C1700 80024012
	v_add_u32_e32 v18, 0x2000, v18                             // 000000008AA8: 682424FF 00002000
	buffer_store_dwordx4 v[52:55], v18, s[8:11], 0 offen offset:1536// 000000008AB0: E07C1600 80023412
	buffer_store_dwordx4 v[68:71], v18, s[8:11], 0 offen offset:1792// 000000008AB8: E07C1700 80024412
	v_add_u32_e32 v18, 0x2000, v18                             // 000000008AC0: 682424FF 00002000
	v_mov_b32_e32 v20, v24                                     // 000000008AC8: 7E280318
	buffer_store_dword v24, v26, s[12:15], 0 offen             // 000000008ACC: E0701000 8003181A
	s_mul_i32 s56, 4, s77                                      // 000000008AD4: 92384D84
	v_add_u32_e64 v26, v26, s56                                // 000000008AD8: D134001A 0000711A

0000000000008ae0 <label_65E0>:
	s_mov_b32 s56, 32                                          // 000000008AE0: BEB800A0
	s_addk_i32 s85, 0x1                                        // 000000008AE4: B7550001
	s_cmp_lt_i32 s85, s86                                      // 000000008AE8: BF045655
	s_cbranch_scc1 label_00A4                                  // 000000008AEC: BF85E6AD

0000000000008af0 <label_65F0>:
	s_waitcnt vmcnt(0) expcnt(0) lgkmcnt(0)                    // 000000008AF0: BF8C0000
	s_endpgm                                                   // 000000008AF4: BF810000
